;; amdgpu-corpus repo=ROCm/rocFFT kind=compiled arch=gfx950 opt=O3
	.text
	.amdgcn_target "amdgcn-amd-amdhsa--gfx950"
	.amdhsa_code_object_version 6
	.protected	fft_rtc_fwd_len2250_factors_10_3_5_3_5_wgs_90_tpt_90_halfLds_sp_ip_CI_unitstride_sbrr_dirReg ; -- Begin function fft_rtc_fwd_len2250_factors_10_3_5_3_5_wgs_90_tpt_90_halfLds_sp_ip_CI_unitstride_sbrr_dirReg
	.globl	fft_rtc_fwd_len2250_factors_10_3_5_3_5_wgs_90_tpt_90_halfLds_sp_ip_CI_unitstride_sbrr_dirReg
	.p2align	8
	.type	fft_rtc_fwd_len2250_factors_10_3_5_3_5_wgs_90_tpt_90_halfLds_sp_ip_CI_unitstride_sbrr_dirReg,@function
fft_rtc_fwd_len2250_factors_10_3_5_3_5_wgs_90_tpt_90_halfLds_sp_ip_CI_unitstride_sbrr_dirReg: ; @fft_rtc_fwd_len2250_factors_10_3_5_3_5_wgs_90_tpt_90_halfLds_sp_ip_CI_unitstride_sbrr_dirReg
; %bb.0:
	s_load_dwordx2 s[8:9], s[0:1], 0x50
	s_load_dwordx4 s[4:7], s[0:1], 0x0
	s_load_dwordx2 s[10:11], s[0:1], 0x18
	v_mul_u32_u24_e32 v1, 0x2d9, v0
	v_add_u32_sdwa v6, s2, v1 dst_sel:DWORD dst_unused:UNUSED_PAD src0_sel:DWORD src1_sel:WORD_1
	v_mov_b32_e32 v4, 0
	s_waitcnt lgkmcnt(0)
	v_cmp_lt_u64_e64 s[2:3], s[6:7], 2
	v_mov_b32_e32 v7, v4
	s_and_b64 vcc, exec, s[2:3]
	v_mov_b64_e32 v[2:3], 0
	s_cbranch_vccnz .LBB0_8
; %bb.1:
	s_load_dwordx2 s[2:3], s[0:1], 0x10
	s_add_u32 s12, s10, 8
	s_addc_u32 s13, s11, 0
	s_mov_b64 s[14:15], 1
	v_mov_b64_e32 v[2:3], 0
	s_waitcnt lgkmcnt(0)
	s_add_u32 s16, s2, 8
	s_addc_u32 s17, s3, 0
.LBB0_2:                                ; =>This Inner Loop Header: Depth=1
	s_load_dwordx2 s[18:19], s[16:17], 0x0
                                        ; implicit-def: $vgpr8_vgpr9
	s_waitcnt lgkmcnt(0)
	v_or_b32_e32 v5, s19, v7
	v_cmp_ne_u64_e32 vcc, 0, v[4:5]
	s_and_saveexec_b64 s[2:3], vcc
	s_xor_b64 s[20:21], exec, s[2:3]
	s_cbranch_execz .LBB0_4
; %bb.3:                                ;   in Loop: Header=BB0_2 Depth=1
	v_cvt_f32_u32_e32 v1, s18
	v_cvt_f32_u32_e32 v5, s19
	s_sub_u32 s2, 0, s18
	s_subb_u32 s3, 0, s19
	v_fmac_f32_e32 v1, 0x4f800000, v5
	v_rcp_f32_e32 v1, v1
	s_nop 0
	v_mul_f32_e32 v1, 0x5f7ffffc, v1
	v_mul_f32_e32 v5, 0x2f800000, v1
	v_trunc_f32_e32 v5, v5
	v_fmac_f32_e32 v1, 0xcf800000, v5
	v_cvt_u32_f32_e32 v5, v5
	v_cvt_u32_f32_e32 v1, v1
	v_mul_lo_u32 v8, s2, v5
	v_mul_hi_u32 v10, s2, v1
	v_mul_lo_u32 v9, s3, v1
	v_add_u32_e32 v10, v10, v8
	v_mul_lo_u32 v12, s2, v1
	v_add_u32_e32 v13, v10, v9
	v_mul_hi_u32 v8, v1, v12
	v_mul_hi_u32 v11, v1, v13
	v_mul_lo_u32 v10, v1, v13
	v_mov_b32_e32 v9, v4
	v_lshl_add_u64 v[8:9], v[8:9], 0, v[10:11]
	v_mul_hi_u32 v11, v5, v12
	v_mul_lo_u32 v12, v5, v12
	v_add_co_u32_e32 v8, vcc, v8, v12
	v_mul_hi_u32 v10, v5, v13
	s_nop 0
	v_addc_co_u32_e32 v8, vcc, v9, v11, vcc
	v_mov_b32_e32 v9, v4
	s_nop 0
	v_addc_co_u32_e32 v11, vcc, 0, v10, vcc
	v_mul_lo_u32 v10, v5, v13
	v_lshl_add_u64 v[8:9], v[8:9], 0, v[10:11]
	v_add_co_u32_e32 v1, vcc, v1, v8
	v_mul_lo_u32 v10, s2, v1
	s_nop 0
	v_addc_co_u32_e32 v5, vcc, v5, v9, vcc
	v_mul_lo_u32 v8, s2, v5
	v_mul_hi_u32 v9, s2, v1
	v_add_u32_e32 v8, v9, v8
	v_mul_lo_u32 v9, s3, v1
	v_add_u32_e32 v12, v8, v9
	v_mul_hi_u32 v14, v5, v10
	v_mul_lo_u32 v15, v5, v10
	v_mul_hi_u32 v9, v1, v12
	v_mul_lo_u32 v8, v1, v12
	v_mul_hi_u32 v10, v1, v10
	v_mov_b32_e32 v11, v4
	v_lshl_add_u64 v[8:9], v[10:11], 0, v[8:9]
	v_add_co_u32_e32 v8, vcc, v8, v15
	v_mul_hi_u32 v13, v5, v12
	s_nop 0
	v_addc_co_u32_e32 v8, vcc, v9, v14, vcc
	v_mul_lo_u32 v10, v5, v12
	s_nop 0
	v_addc_co_u32_e32 v11, vcc, 0, v13, vcc
	v_mov_b32_e32 v9, v4
	v_lshl_add_u64 v[8:9], v[8:9], 0, v[10:11]
	v_add_co_u32_e32 v1, vcc, v1, v8
	v_mul_hi_u32 v10, v6, v1
	s_nop 0
	v_addc_co_u32_e32 v5, vcc, v5, v9, vcc
	v_mad_u64_u32 v[8:9], s[2:3], v6, v5, 0
	v_mov_b32_e32 v11, v4
	v_lshl_add_u64 v[8:9], v[10:11], 0, v[8:9]
	v_mad_u64_u32 v[12:13], s[2:3], v7, v1, 0
	v_add_co_u32_e32 v1, vcc, v8, v12
	v_mad_u64_u32 v[10:11], s[2:3], v7, v5, 0
	s_nop 0
	v_addc_co_u32_e32 v8, vcc, v9, v13, vcc
	v_mov_b32_e32 v9, v4
	s_nop 0
	v_addc_co_u32_e32 v11, vcc, 0, v11, vcc
	v_lshl_add_u64 v[8:9], v[8:9], 0, v[10:11]
	v_mul_lo_u32 v1, s19, v8
	v_mul_lo_u32 v5, s18, v9
	v_mad_u64_u32 v[10:11], s[2:3], s18, v8, 0
	v_add3_u32 v1, v11, v5, v1
	v_sub_u32_e32 v5, v7, v1
	v_mov_b32_e32 v11, s19
	v_sub_co_u32_e32 v14, vcc, v6, v10
	v_lshl_add_u64 v[12:13], v[8:9], 0, 1
	s_nop 0
	v_subb_co_u32_e64 v5, s[2:3], v5, v11, vcc
	v_subrev_co_u32_e64 v10, s[2:3], s18, v14
	v_subb_co_u32_e32 v1, vcc, v7, v1, vcc
	s_nop 0
	v_subbrev_co_u32_e64 v5, s[2:3], 0, v5, s[2:3]
	v_cmp_le_u32_e64 s[2:3], s19, v5
	v_cmp_le_u32_e32 vcc, s19, v1
	s_nop 0
	v_cndmask_b32_e64 v11, 0, -1, s[2:3]
	v_cmp_le_u32_e64 s[2:3], s18, v10
	s_nop 1
	v_cndmask_b32_e64 v10, 0, -1, s[2:3]
	v_cmp_eq_u32_e64 s[2:3], s19, v5
	s_nop 1
	v_cndmask_b32_e64 v5, v11, v10, s[2:3]
	v_lshl_add_u64 v[10:11], v[8:9], 0, 2
	v_cmp_ne_u32_e64 s[2:3], 0, v5
	s_nop 1
	v_cndmask_b32_e64 v5, v13, v11, s[2:3]
	v_cndmask_b32_e64 v11, 0, -1, vcc
	v_cmp_le_u32_e32 vcc, s18, v14
	s_nop 1
	v_cndmask_b32_e64 v13, 0, -1, vcc
	v_cmp_eq_u32_e32 vcc, s19, v1
	s_nop 1
	v_cndmask_b32_e32 v1, v11, v13, vcc
	v_cmp_ne_u32_e32 vcc, 0, v1
	v_cndmask_b32_e64 v1, v12, v10, s[2:3]
	s_nop 0
	v_cndmask_b32_e32 v9, v9, v5, vcc
	v_cndmask_b32_e32 v8, v8, v1, vcc
.LBB0_4:                                ;   in Loop: Header=BB0_2 Depth=1
	s_andn2_saveexec_b64 s[2:3], s[20:21]
	s_cbranch_execz .LBB0_6
; %bb.5:                                ;   in Loop: Header=BB0_2 Depth=1
	v_cvt_f32_u32_e32 v1, s18
	s_sub_i32 s20, 0, s18
	v_rcp_iflag_f32_e32 v1, v1
	s_nop 0
	v_mul_f32_e32 v1, 0x4f7ffffe, v1
	v_cvt_u32_f32_e32 v1, v1
	v_mul_lo_u32 v5, s20, v1
	v_mul_hi_u32 v5, v1, v5
	v_add_u32_e32 v1, v1, v5
	v_mul_hi_u32 v1, v6, v1
	v_mul_lo_u32 v5, v1, s18
	v_sub_u32_e32 v5, v6, v5
	v_add_u32_e32 v8, 1, v1
	v_subrev_u32_e32 v9, s18, v5
	v_cmp_le_u32_e32 vcc, s18, v5
	s_nop 1
	v_cndmask_b32_e32 v5, v5, v9, vcc
	v_cndmask_b32_e32 v1, v1, v8, vcc
	v_add_u32_e32 v8, 1, v1
	v_cmp_le_u32_e32 vcc, s18, v5
	v_mov_b32_e32 v9, v4
	s_nop 0
	v_cndmask_b32_e32 v8, v1, v8, vcc
.LBB0_6:                                ;   in Loop: Header=BB0_2 Depth=1
	s_or_b64 exec, exec, s[2:3]
	v_mad_u64_u32 v[10:11], s[2:3], v8, s18, 0
	s_load_dwordx2 s[2:3], s[12:13], 0x0
	v_mul_lo_u32 v1, v9, s18
	v_mul_lo_u32 v5, v8, s19
	v_add3_u32 v1, v11, v5, v1
	v_sub_co_u32_e32 v5, vcc, v6, v10
	s_add_u32 s14, s14, 1
	s_nop 0
	v_subb_co_u32_e32 v1, vcc, v7, v1, vcc
	s_addc_u32 s15, s15, 0
	s_waitcnt lgkmcnt(0)
	v_mul_lo_u32 v1, s2, v1
	v_mul_lo_u32 v6, s3, v5
	v_mad_u64_u32 v[2:3], s[2:3], s2, v5, v[2:3]
	s_add_u32 s12, s12, 8
	v_add3_u32 v3, v6, v3, v1
	s_addc_u32 s13, s13, 0
	v_mov_b64_e32 v[6:7], s[6:7]
	s_add_u32 s16, s16, 8
	v_cmp_ge_u64_e32 vcc, s[14:15], v[6:7]
	s_addc_u32 s17, s17, 0
	s_cbranch_vccnz .LBB0_9
; %bb.7:                                ;   in Loop: Header=BB0_2 Depth=1
	v_mov_b64_e32 v[6:7], v[8:9]
	s_branch .LBB0_2
.LBB0_8:
	v_mov_b64_e32 v[8:9], v[6:7]
.LBB0_9:
	s_lshl_b64 s[2:3], s[6:7], 3
	s_add_u32 s2, s10, s2
	s_addc_u32 s3, s11, s3
	s_load_dwordx2 s[6:7], s[2:3], 0x0
	s_load_dwordx2 s[10:11], s[0:1], 0x20
	s_mov_b32 s2, 0x2d82d83
                                        ; implicit-def: $vgpr46
                                        ; implicit-def: $vgpr45
                                        ; implicit-def: $vgpr64
                                        ; implicit-def: $vgpr51
                                        ; implicit-def: $vgpr74
                                        ; implicit-def: $vgpr6
                                        ; implicit-def: $vgpr18
                                        ; implicit-def: $vgpr54
                                        ; implicit-def: $vgpr56
                                        ; implicit-def: $vgpr60
                                        ; implicit-def: $vgpr58
                                        ; implicit-def: $vgpr52
                                        ; implicit-def: $vgpr34
                                        ; implicit-def: $vgpr32
                                        ; implicit-def: $vgpr36
                                        ; implicit-def: $vgpr38
                                        ; implicit-def: $vgpr48
                                        ; implicit-def: $vgpr22
                                        ; implicit-def: $vgpr10
                                        ; implicit-def: $vgpr14
                                        ; implicit-def: $vgpr12
                                        ; implicit-def: $vgpr20
                                        ; implicit-def: $vgpr24
                                        ; implicit-def: $vgpr76
                                        ; implicit-def: $vgpr66
                                        ; implicit-def: $vgpr28
                                        ; implicit-def: $vgpr16
                                        ; implicit-def: $vgpr42
                                        ; implicit-def: $vgpr30
                                        ; implicit-def: $vgpr26
                                        ; implicit-def: $vgpr40
	s_waitcnt lgkmcnt(0)
	v_mul_lo_u32 v1, s6, v9
	v_mul_lo_u32 v4, s7, v8
	v_mad_u64_u32 v[2:3], s[0:1], s6, v8, v[2:3]
	v_add3_u32 v3, v4, v3, v1
	v_mul_hi_u32 v1, v0, s2
	v_mul_u32_u24_e32 v1, 0x5a, v1
	v_cmp_gt_u64_e64 s[0:1], s[10:11], v[8:9]
	v_sub_u32_e32 v0, v0, v1
	v_lshl_add_u64 v[2:3], v[2:3], 3, s[8:9]
                                        ; implicit-def: $vgpr8
                                        ; implicit-def: $vgpr4
	s_and_saveexec_b64 s[2:3], s[0:1]
	s_cbranch_execz .LBB0_13
; %bb.10:
	v_mov_b32_e32 v1, 0
	v_lshl_add_u64 v[44:45], v[0:1], 3, v[2:3]
	v_add_co_u32_e32 v4, vcc, 0x1000, v44
	global_load_dwordx2 v[62:63], v[44:45], off
	global_load_dwordx2 v[40:41], v[44:45], off offset:3600
	v_addc_co_u32_e32 v5, vcc, 0, v45, vcc
	v_add_co_u32_e32 v6, vcc, 0x2000, v44
	global_load_dwordx2 v[34:35], v[4:5], off offset:3104
	s_nop 0
	v_addc_co_u32_e32 v7, vcc, 0, v45, vcc
	global_load_dwordx2 v[30:31], v[6:7], off offset:2608
	v_add_co_u32_e32 v8, vcc, 0x3000, v44
                                        ; implicit-def: $vgpr25
                                        ; implicit-def: $vgpr21
                                        ; implicit-def: $vgpr59
                                        ; implicit-def: $vgpr61
                                        ; implicit-def: $vgpr57
                                        ; implicit-def: $vgpr55
                                        ; implicit-def: $vgpr19
                                        ; implicit-def: $vgpr46
	s_nop 1
	v_addc_co_u32_e32 v9, vcc, 0, v45, vcc
	global_load_dwordx2 v[42:43], v[8:9], off offset:2112
	global_load_dwordx2 v[64:65], v[44:45], off offset:2520
	;; [unrolled: 1-line block ×13, first 2 shown]
	v_add_co_u32_e32 v4, vcc, 0x4000, v44
                                        ; implicit-def: $vgpr7
	s_nop 1
	v_addc_co_u32_e32 v5, vcc, 0, v45, vcc
	global_load_dwordx2 v[14:15], v[4:5], off offset:536
	global_load_dwordx2 v[36:37], v[8:9], off offset:3912
	;; [unrolled: 1-line block ×3, first 2 shown]
	v_cmp_gt_u32_e32 vcc, 45, v0
                                        ; implicit-def: $vgpr5
                                        ; implicit-def: $vgpr8
	s_and_saveexec_b64 s[6:7], vcc
	s_cbranch_execz .LBB0_12
; %bb.11:
	v_add_co_u32_e32 v18, vcc, 0x1000, v44
	global_load_dwordx2 v[46:47], v[44:45], off offset:1440
	s_nop 0
	v_addc_co_u32_e32 v19, vcc, 0, v45, vcc
	v_add_co_u32_e32 v24, vcc, 0x2000, v44
	s_nop 1
	v_addc_co_u32_e32 v25, vcc, 0, v45, vcc
	global_load_dwordx2 v[6:7], v[24:25], off offset:448
	v_add_co_u32_e32 v48, vcc, 0x3000, v44
	s_nop 1
	v_addc_co_u32_e32 v49, vcc, 0, v45, vcc
	global_load_dwordx2 v[4:5], v[48:49], off offset:3552
	global_load_dwordx2 v[56:57], v[18:19], off offset:2744
	global_load_dwordx2 v[20:21], v[18:19], off offset:944
	global_load_dwordx2 v[58:59], v[44:45], off offset:3240
	global_load_dwordx2 v[54:55], v[48:49], off offset:1752
	global_load_dwordx2 v[8:9], v[24:25], off offset:4048
	global_load_dwordx2 v[60:61], v[24:25], off offset:2248
	v_add_co_u32_e32 v18, vcc, 0x4000, v44
	s_waitcnt vmcnt(6)
	v_mov_b32_e32 v24, v4
	v_addc_co_u32_e32 v19, vcc, 0, v45, vcc
	global_load_dwordx2 v[18:19], v[18:19], off offset:1256
	s_waitcnt vmcnt(5)
	v_mov_b32_e32 v25, v20
	v_mov_b32_e32 v20, v7
	s_waitcnt vmcnt(2)
	v_mov_b32_e32 v4, v9
	v_mov_b32_e32 v7, v47
.LBB0_12:
	s_or_b64 exec, exec, s[6:7]
	s_waitcnt vmcnt(6)
	v_mov_b32_e32 v45, v22
	v_mov_b32_e32 v51, v34
	;; [unrolled: 1-line block ×12, first 2 shown]
.LBB0_13:
	s_or_b64 exec, exec, s[2:3]
	s_waitcnt vmcnt(1)
	v_mov_b32_e32 v62, v36
	v_mov_b32_e32 v63, v76
	;; [unrolled: 1-line block ×4, first 2 shown]
	v_pk_add_f32 v[62:63], v[62:63], v[68:69] neg_lo:[0,1] neg_hi:[0,1]
	v_pk_add_f32 v[68:69], v[36:37], v[32:33] neg_lo:[0,1] neg_hi:[0,1]
	v_pk_add_f32 v[70:71], v[52:53], v[38:39] op_sel_hi:[0,1] neg_lo:[0,1] neg_hi:[0,1]
	s_mov_b32 s7, 0x3f737871
	v_mov_b32_e32 v82, v76
	v_mov_b32_e32 v83, v52
	;; [unrolled: 1-line block ×5, first 2 shown]
	s_mov_b32 s2, s7
	v_pk_add_f32 v[62:63], v[32:33], v[38:39]
	v_pk_add_f32 v[80:81], v[82:83], v[36:37] neg_lo:[0,1] neg_hi:[0,1]
	v_pk_add_f32 v[78:79], v[68:69], v[70:71]
	v_pk_fma_f32 v[62:63], v[62:63], 0.5, v[74:75] op_sel_hi:[1,0,1] neg_lo:[1,0,0] neg_hi:[1,0,0]
	v_pk_mul_f32 v[68:69], v[80:81], s[2:3] op_sel_hi:[1,0]
	v_mov_b32_e32 v65, v22
	v_pk_add_f32 v[72:73], v[68:69], v[62:63] op_sel:[1,0] op_sel_hi:[0,1]
	v_pk_add_f32 v[84:85], v[62:63], v[68:69] op_sel:[0,1] op_sel_hi:[1,0] neg_lo:[0,1] neg_hi:[0,1]
	v_mov_b32_e32 v62, v66
	v_mov_b32_e32 v63, v48
	v_pk_add_f32 v[68:69], v[10:11], v[14:15] neg_lo:[0,1] neg_hi:[0,1]
	v_pk_add_f32 v[70:71], v[12:13], v[62:63] neg_lo:[0,1] neg_hi:[0,1]
	;; [unrolled: 1-line block ×3, first 2 shown]
	v_pk_add_f32 v[70:71], v[68:69], v[70:71]
	v_pk_add_f32 v[68:69], v[14:15], v[62:63]
	v_pk_mul_f32 v[88:89], v[86:87], s[2:3] op_sel_hi:[1,0]
	v_pk_fma_f32 v[68:69], v[68:69], 0.5, v[64:65] op_sel_hi:[1,0,1] neg_lo:[1,0,0] neg_hi:[1,0,0]
	s_mov_b32 s9, 0x3f167918
	v_pk_add_f32 v[90:91], v[88:89], v[68:69] op_sel:[1,0] op_sel_hi:[0,1]
	v_pk_add_f32 v[68:69], v[68:69], v[88:89] op_sel:[0,1] op_sel_hi:[1,0] neg_lo:[0,1] neg_hi:[0,1]
	s_mov_b32 s10, s9
	v_pk_add_f32 v[88:89], v[62:63], v[14:15] neg_lo:[0,1] neg_hi:[0,1]
	s_mov_b32 s8, 0x3e9e377a
	v_pk_mul_f32 v[92:93], v[88:89], s[10:11] op_sel_hi:[1,0]
	v_pk_add_f32 v[62:63], v[62:63], v[12:13] neg_lo:[0,1] neg_hi:[0,1]
	v_pk_add_f32 v[90:91], v[90:91], v[92:93] op_sel:[0,1] op_sel_hi:[1,0] neg_lo:[0,1] neg_hi:[0,1]
	v_pk_add_f32 v[92:93], v[92:93], v[68:69] op_sel:[1,0] op_sel_hi:[0,1]
	v_pk_fma_f32 v[68:69], v[70:71], s[8:9], v[90:91] op_sel_hi:[1,0,1]
	v_pk_add_f32 v[90:91], v[14:15], v[10:11] neg_lo:[0,1] neg_hi:[0,1]
	v_pk_mul_f32 v[88:89], v[88:89], s[2:3] op_sel_hi:[1,0]
	v_pk_add_f32 v[90:91], v[90:91], v[62:63]
	v_pk_add_f32 v[62:63], v[10:11], v[12:13]
	v_pk_mul_f32 v[104:105], v[86:87], s[10:11] op_sel_hi:[1,0]
	v_pk_fma_f32 v[62:63], v[62:63], 0.5, v[64:65] op_sel_hi:[1,0,1] neg_lo:[1,0,0] neg_hi:[1,0,0]
	v_pk_fma_f32 v[70:71], v[70:71], s[8:9], v[92:93] op_sel_hi:[1,0,1]
	v_pk_add_f32 v[100:101], v[88:89], v[62:63] op_sel:[1,0] op_sel_hi:[0,1]
	v_pk_add_f32 v[62:63], v[62:63], v[88:89] op_sel:[0,1] op_sel_hi:[1,0] neg_lo:[0,1] neg_hi:[0,1]
	v_pk_add_f32 v[92:93], v[100:101], v[104:105] op_sel:[0,1] op_sel_hi:[1,0]
	v_pk_add_f32 v[62:63], v[62:63], v[104:105] op_sel:[0,1] op_sel_hi:[1,0] neg_lo:[0,1] neg_hi:[0,1]
	v_pk_add_f32 v[86:87], v[48:49], v[26:27]
	v_pk_mul_f32 v[106:107], v[90:91], s[8:9] op_sel_hi:[1,0]
	v_pk_add_f32 v[88:89], v[38:39], v[32:33] neg_lo:[0,1] neg_hi:[0,1]
	v_mov_b32_e32 v92, v62
	v_mov_b32_e32 v62, v87
	;; [unrolled: 1-line block ×4, first 2 shown]
	v_pk_mul_f32 v[94:95], v[88:89], s[10:11] op_sel_hi:[1,0]
	v_pk_add_f32 v[62:63], v[86:87], v[62:63]
	v_pk_add_f32 v[86:87], v[84:85], v[94:95] op_sel:[0,1] op_sel_hi:[1,0] neg_lo:[0,1] neg_hi:[0,1]
	v_pk_add_f32 v[84:85], v[72:73], v[94:95] op_sel:[0,1] op_sel_hi:[1,0]
	v_mov_b32_e32 v94, v40
	v_mov_b32_e32 v73, v72
	;; [unrolled: 1-line block ×3, first 2 shown]
	v_pk_mul_f32 v[102:103], v[78:79], s[8:9] op_sel_hi:[1,0]
	v_pk_add_f32 v[72:73], v[94:95], v[72:73]
	v_mov_b32_e32 v94, v51
	v_mov_b32_e32 v95, v102
	v_add_f32_e32 v1, v30, v51
	v_pk_add_f32 v[72:73], v[94:95], v[72:73]
	v_mul_f32_e32 v1, 0.5, v1
	v_pk_add_f32 v[94:95], v[36:37], v[82:83]
	v_mov_b32_e32 v104, v26
	v_pk_fma_f32 v[98:99], v[94:95], 0.5, v[74:75] op_sel_hi:[1,0,1] neg_lo:[1,0,0] neg_hi:[1,0,0]
	v_mov_b32_e32 v75, v1
	v_add_f32_e32 v1, v42, v40
	v_pk_add_f32 v[96:97], v[76:77], v[74:75]
	v_pk_add_f32 v[94:95], v[76:77], v[74:75] neg_lo:[0,1] neg_hi:[0,1]
	v_mov_b32_e32 v76, v53
	v_mul_f32_e32 v75, 0.5, v1
	v_mov_b32_e32 v74, v43
	v_pk_add_f32 v[76:77], v[76:77], v[74:75] neg_lo:[0,1] neg_hi:[0,1]
	v_mov_b32_e32 v75, v100
	v_mov_b32_e32 v74, v67
	v_pk_add_f32 v[74:75], v[104:105], v[74:75]
	v_mov_b32_e32 v101, v106
	v_mov_b32_e32 v100, v45
	v_pk_add_f32 v[74:75], v[100:101], v[74:75]
	v_mov_b32_e32 v101, 0x3f4f1bbd
	v_mov_b32_e32 v100, v30
	v_pk_mul_f32 v[104:105], v[100:101], v[72:73]
	v_mov_b32_e32 v100, v16
	v_pk_mul_f32 v[100:101], v[100:101], v[74:75]
	v_pk_add_f32 v[106:107], v[16:17], v[74:75]
	v_add_f32_e32 v1, v16, v45
	v_mov_b32_e32 v107, v101
	v_mul_f32_e32 v101, 0x3f167918, v63
	s_waitcnt vmcnt(0)
	v_mov_b32_e32 v100, v28
	v_mul_f32_e32 v65, 0.5, v1
	v_add_f32_e32 v1, v28, v26
	v_pk_add_f32 v[100:101], v[100:101], v[106:107]
	v_pk_add_f32 v[106:107], v[66:67], v[64:65]
	v_pk_add_f32 v[64:65], v[66:67], v[64:65] neg_lo:[0,1] neg_hi:[0,1]
	v_mov_b32_e32 v66, v49
	v_mul_f32_e32 v109, 0.5, v1
	v_mov_b32_e32 v108, v29
	v_pk_add_f32 v[66:67], v[66:67], v[108:109] neg_lo:[0,1] neg_hi:[0,1]
	v_mov_b32_e32 v108, v28
	v_mov_b32_e32 v109, v26
	;; [unrolled: 1-line block ×3, first 2 shown]
	v_pk_add_f32 v[110:111], v[108:109], v[44:45] neg_lo:[0,1] neg_hi:[0,1]
	v_mov_b32_e32 v113, v17
	v_mov_b32_e32 v112, v111
	v_pk_add_f32 v[110:111], v[110:111], v[112:113]
	v_pk_add_f32 v[112:113], v[22:23], v[112:113] neg_lo:[0,1] neg_hi:[0,1]
	v_pk_mul_f32 v[114:115], v[66:67], s[10:11]
	v_mov_b32_e32 v111, v113
	v_mov_b32_e32 v115, v114
	v_fmamk_f32 v114, v113, 0xbf737871, v67
	v_mul_f32_e32 v1, 0x3f737871, v113
	v_mov_b32_e32 v112, v42
	v_mov_b32_e32 v113, v40
	;; [unrolled: 1-line block ×3, first 2 shown]
	v_pk_add_f32 v[116:117], v[112:113], v[50:51] neg_lo:[0,1] neg_hi:[0,1]
	v_mov_b32_e32 v119, v31
	v_mov_b32_e32 v118, v117
	v_pk_mul_f32 v[120:121], v[76:77], s[10:11]
	v_pk_add_f32 v[122:123], v[34:35], v[118:119] neg_lo:[0,1] neg_hi:[0,1]
	v_mov_b32_e32 v121, v120
	v_fmamk_f32 v120, v123, 0xbf737871, v77
	v_mul_f32_e32 v125, 0x3f737871, v123
	v_mov_b32_e32 v124, 0x3f167918
	v_pk_add_f32 v[126:127], v[76:77], v[124:125]
	v_pk_fma_f32 v[128:129], v[76:77], v[124:125], v[120:121]
	v_mov_b32_e32 v125, v1
	v_pk_add_f32 v[130:131], v[66:67], v[124:125]
	v_pk_fma_f32 v[124:125], v[66:67], v[124:125], v[114:115]
	v_pk_add_f32 v[114:115], v[130:131], v[114:115] neg_lo:[0,1] neg_hi:[0,1]
	v_mov_b32_e32 v107, v65
	v_mov_b32_e32 v125, v115
	v_mul_f32_e32 v115, 0x3f737871, v66
	v_mov_b32_e32 v114, v12
	v_pk_add_f32 v[106:107], v[114:115], v[106:107]
	v_pk_mul_f32 v[114:115], v[110:111], s[8:9]
	v_pk_add_f32 v[108:109], v[44:45], v[108:109] neg_lo:[0,1] neg_hi:[0,1]
	v_mov_b32_e32 v110, v10
	v_mov_b32_e32 v111, v115
	v_add_f32_e32 v1, v108, v109
	v_pk_add_f32 v[106:107], v[110:111], v[106:107]
	v_mov_b32_e32 v110, v14
	v_mov_b32_e32 v111, v114
	s_mov_b32 s6, s8
	v_mul_f32_e32 v44, 0x3e9e377a, v1
	v_pk_add_f32 v[106:107], v[110:111], v[106:107]
	v_pk_mul_f32 v[110:111], v[68:69], s[6:7]
	v_pk_add_f32 v[108:109], v[44:45], v[124:125] op_sel_hi:[0,1]
	v_pk_fma_f32 v[124:125], v[70:71], s[6:7], v[110:111] op_sel:[0,0,1] op_sel_hi:[1,1,0]
	v_pk_fma_f32 v[130:131], v[70:71], s[6:7], v[110:111] op_sel:[0,0,1] op_sel_hi:[1,1,0] neg_lo:[0,0,1] neg_hi:[0,0,1]
	v_mad_u32_u24 v111, v0, 40, 0
	v_mov_b32_e32 v125, v131
	v_add_u32_e32 v1, 0xe10, v111
	v_pk_add_f32 v[132:133], v[108:109], v[124:125]
	v_pk_add_f32 v[134:135], v[106:107], v[100:101]
	v_fmac_f32_e32 v65, 0xbf737871, v66
	ds_write2_b64 v1, v[134:135], v[132:133] offset1:1
	v_pk_fma_f32 v[90:91], v[90:91], s[8:9], v[92:93] op_sel_hi:[1,0,1]
	v_sub_f32_e32 v1, v65, v115
	v_add_f32_e32 v64, v114, v1
	v_mul_f32_e32 v1, 0x3f4f1bbd, v90
	v_mov_b32_e32 v65, v100
	v_mov_b32_e32 v66, v101
	;; [unrolled: 1-line block ×6, first 2 shown]
	v_fma_f32 v106, v91, s9, -v1
	v_pk_add_f32 v[66:67], v[92:93], v[66:67] neg_lo:[0,1] neg_hi:[0,1]
	v_pk_add_f32 v[92:93], v[64:65], v[106:107]
	v_pk_add_f32 v[100:101], v[64:65], v[106:107] neg_lo:[0,1] neg_hi:[0,1]
	v_add_u32_e32 v1, 0xe20, v111
	v_mov_b32_e32 v93, v101
	ds_write2_b64 v1, v[92:93], v[66:67] offset1:1
	v_pk_add_f32 v[82:83], v[38:39], v[82:83] neg_lo:[0,1] neg_hi:[0,1]
	v_pk_add_f32 v[92:93], v[32:33], v[36:37] neg_lo:[0,1] neg_hi:[0,1]
	v_pk_mul_f32 v[88:89], v[88:89], s[2:3] op_sel_hi:[1,0]
	v_pk_add_f32 v[82:83], v[92:93], v[82:83]
	v_pk_add_f32 v[92:93], v[88:89], v[98:99] op_sel:[1,0] op_sel_hi:[0,1]
	v_pk_add_f32 v[88:89], v[98:99], v[88:89] op_sel:[0,1] op_sel_hi:[1,0] neg_lo:[0,1] neg_hi:[0,1]
	v_pk_mul_f32 v[80:81], v[80:81], s[10:11] op_sel_hi:[1,0]
	v_pk_add_f32 v[66:67], v[116:117], v[118:119]
	v_pk_add_f32 v[92:93], v[92:93], v[80:81] op_sel:[0,1] op_sel_hi:[1,0] neg_lo:[0,1] neg_hi:[0,1]
	v_pk_add_f32 v[80:81], v[80:81], v[88:89] op_sel:[1,0] op_sel_hi:[0,1]
	v_pk_fma_f32 v[100:101], v[82:83], s[8:9], v[80:81] op_sel_hi:[1,0,1]
	v_pk_add_f32 v[80:81], v[52:53], v[40:41]
	v_mov_b32_e32 v84, v86
	v_mov_b32_e32 v86, v81
	;; [unrolled: 1-line block ×4, first 2 shown]
	v_pk_add_f32 v[88:89], v[102:103], v[86:87]
	v_pk_add_f32 v[80:81], v[30:31], v[72:73]
	v_pk_fma_f32 v[98:99], v[82:83], s[8:9], v[92:93] op_sel_hi:[1,0,1]
	v_mov_b32_e32 v81, v105
	v_mul_f32_e32 v83, 0x3f167918, v89
	v_mov_b32_e32 v82, v42
	v_mov_b32_e32 v97, v95
	v_mul_f32_e32 v87, 0x3f737871, v76
	v_mov_b32_e32 v86, v38
	v_pk_mul_f32 v[66:67], v[66:67], s[8:9]
	v_pk_add_f32 v[80:81], v[82:83], v[80:81]
	v_pk_add_f32 v[82:83], v[126:127], v[120:121] neg_lo:[0,1] neg_hi:[0,1]
	v_pk_add_f32 v[86:87], v[86:87], v[96:97]
	v_mov_b32_e32 v92, v32
	v_mov_b32_e32 v93, v67
	;; [unrolled: 1-line block ×3, first 2 shown]
	v_pk_add_f32 v[82:83], v[50:51], v[112:113] neg_lo:[0,1] neg_hi:[0,1]
	v_pk_add_f32 v[86:87], v[92:93], v[86:87]
	v_mov_b32_e32 v92, v36
	v_mov_b32_e32 v93, v66
	v_add_f32_e32 v1, v82, v83
	v_pk_add_f32 v[86:87], v[92:93], v[86:87]
	v_pk_mul_f32 v[92:93], v[98:99], s[6:7]
	v_mul_f32_e32 v10, 0x3e9e377a, v1
	v_pk_fma_f32 v[96:97], v[100:101], s[6:7], v[92:93] op_sel:[0,0,1] op_sel_hi:[1,1,0]
	v_pk_fma_f32 v[104:105], v[100:101], s[6:7], v[92:93] op_sel:[0,0,1] op_sel_hi:[1,1,0] neg_lo:[0,0,1] neg_hi:[0,0,1]
	v_pk_add_f32 v[82:83], v[10:11], v[128:129] op_sel_hi:[0,1]
	v_mov_b32_e32 v97, v105
	v_pk_add_f32 v[92:93], v[82:83], v[96:97]
	v_pk_add_f32 v[102:103], v[86:87], v[80:81]
	v_fmac_f32_e32 v95, 0xbf737871, v76
	ds_write2_b64 v111, v[102:103], v[92:93] offset1:1
	v_pk_fma_f32 v[102:103], v[78:79], s[8:9], v[84:85] op_sel_hi:[1,0,1]
	v_sub_f32_e32 v1, v95, v67
	v_add_f32_e32 v66, v66, v1
	v_mov_b32_e32 v76, v81
	v_mov_b32_e32 v77, v96
	;; [unrolled: 1-line block ×4, first 2 shown]
	v_mul_f32_e32 v1, 0x3f4f1bbd, v102
	v_mov_b32_e32 v67, v80
	v_pk_add_f32 v[76:77], v[78:79], v[76:77] neg_lo:[0,1] neg_hi:[0,1]
	v_mov_b32_e32 v79, v86
	v_fma_f32 v78, v103, s9, -v1
	v_pk_add_f32 v[80:81], v[66:67], v[78:79]
	v_pk_add_f32 v[84:85], v[66:67], v[78:79] neg_lo:[0,1] neg_hi:[0,1]
	v_pk_add_f32 v[92:93], v[60:61], v[54:55] neg_lo:[0,1] neg_hi:[0,1]
	v_mov_b32_e32 v81, v85
	ds_write2_b64 v111, v[80:81], v[76:77] offset0:2 offset1:3
	v_pk_add_f32 v[76:77], v[60:61], v[56:57] neg_lo:[0,1] neg_hi:[0,1]
	v_pk_add_f32 v[80:81], v[54:55], v[18:19] neg_lo:[0,1] neg_hi:[0,1]
	v_pk_mul_f32 v[84:85], v[92:93], s[2:3] op_sel_hi:[1,0]
	v_pk_add_f32 v[76:77], v[80:81], v[76:77]
	v_pk_add_f32 v[80:81], v[18:19], v[56:57]
	v_pk_add_f32 v[94:95], v[56:57], v[18:19] neg_lo:[0,1] neg_hi:[0,1]
	v_pk_fma_f32 v[80:81], v[80:81], 0.5, v[58:59] op_sel_hi:[1,0,1] neg_lo:[1,0,0] neg_hi:[1,0,0]
	v_add_f32_e32 v1, v8, v6
	v_pk_add_f32 v[86:87], v[84:85], v[80:81] op_sel:[1,0] op_sel_hi:[0,1]
	v_pk_add_f32 v[80:81], v[80:81], v[84:85] op_sel:[0,1] op_sel_hi:[1,0] neg_lo:[0,1] neg_hi:[0,1]
	v_pk_mul_f32 v[84:85], v[94:95], s[10:11] op_sel_hi:[1,0]
	v_mov_b32_e32 v10, v25
	v_pk_add_f32 v[86:87], v[86:87], v[84:85] op_sel:[0,1] op_sel_hi:[1,0] neg_lo:[0,1] neg_hi:[0,1]
	v_pk_add_f32 v[80:81], v[84:85], v[80:81] op_sel:[1,0] op_sel_hi:[0,1]
	v_pk_fma_f32 v[84:85], v[76:77], s[8:9], v[86:87] op_sel_hi:[1,0,1]
	v_pk_fma_f32 v[86:87], v[76:77], s[8:9], v[80:81] op_sel_hi:[1,0,1]
	v_pk_add_f32 v[76:77], v[56:57], v[58:59]
	v_pk_add_f32 v[56:57], v[56:57], v[60:61] neg_lo:[0,1] neg_hi:[0,1]
	v_pk_add_f32 v[76:77], v[60:61], v[76:77]
	v_pk_add_f32 v[60:61], v[54:55], v[60:61]
	v_pk_mul_f32 v[80:81], v[92:93], s[10:11] op_sel_hi:[1,0]
	v_pk_fma_f32 v[58:59], v[60:61], 0.5, v[58:59] op_sel_hi:[1,0,1] neg_lo:[1,0,0] neg_hi:[1,0,0]
	v_pk_mul_f32 v[60:61], v[94:95], s[2:3] op_sel_hi:[1,0]
	v_pk_add_f32 v[96:97], v[54:55], v[76:77]
	v_pk_add_f32 v[60:61], v[58:59], v[60:61] op_sel:[0,1] op_sel_hi:[1,0] neg_lo:[0,1] neg_hi:[0,1]
	v_pk_add_f32 v[54:55], v[18:19], v[54:55] neg_lo:[0,1] neg_hi:[0,1]
	v_pk_add_f32 v[60:61], v[60:61], v[80:81] op_sel:[0,1] op_sel_hi:[1,0] neg_lo:[0,1] neg_hi:[0,1]
	v_pk_add_f32 v[54:55], v[54:55], v[56:57]
	v_pk_fma_f32 v[56:57], v[94:95], s[2:3], v[58:59] op_sel:[0,0,1] op_sel_hi:[1,0,0]
	v_pk_add_f32 v[58:59], v[46:47], v[10:11] op_sel_hi:[1,0]
	v_pk_fma_f32 v[56:57], v[92:93], s[10:11], v[56:57] op_sel_hi:[1,0,1]
	v_pk_fma_f32 v[92:93], v[54:55], s[8:9], v[60:61] op_sel_hi:[1,0,1]
	v_pk_mul_f32 v[54:55], v[54:55], s[8:9] op_sel_hi:[1,0]
	v_mov_b32_e32 v60, v6
	v_pk_add_f32 v[94:95], v[54:55], v[56:57] op_sel:[1,0] op_sel_hi:[0,1]
	v_mul_f32_e32 v55, 0.5, v1
	v_mov_b32_e32 v54, v25
	v_pk_add_f32 v[56:57], v[46:47], v[54:55] op_sel_hi:[0,1] neg_lo:[0,1] neg_hi:[0,1]
	v_pk_add_f32 v[54:55], v[20:21], v[4:5] neg_lo:[0,1] neg_hi:[0,1]
	v_mov_b32_e32 v59, v57
	v_mul_f32_e32 v61, 0x3f737871, v55
	v_pk_add_f32 v[58:59], v[60:61], v[58:59]
	v_mul_f32_e32 v61, 0x3f167918, v54
	v_mov_b32_e32 v60, v8
	v_mov_b32_e32 v9, v6
	v_pk_add_f32 v[58:59], v[60:61], v[58:59]
	v_pk_add_f32 v[60:61], v[24:25], v[8:9] neg_lo:[0,1] neg_hi:[0,1]
	v_mul_f32_e32 v77, 0x3f4f1bbd, v95
	v_add_f32_e32 v10, v60, v61
	v_mul_f32_e32 v61, 0x3e9e377a, v10
	v_mov_b32_e32 v60, v24
	v_pk_add_f32 v[58:59], v[60:61], v[58:59]
	v_mul_f32_e32 v61, 0x3f167918, v93
	v_mov_b32_e32 v60, v18
	v_mov_b32_e32 v76, v96
	v_fmac_f32_e32 v57, 0xbf737871, v55
	v_pk_add_f32 v[60:61], v[60:61], v[76:77]
	v_mov_b32_e32 v76, v83
	v_mov_b32_e32 v77, v66
	;; [unrolled: 1-line block ×4, first 2 shown]
	v_fmamk_f32 v1, v54, 0xbf167918, v57
	v_pk_add_f32 v[66:67], v[76:77], v[66:67] neg_lo:[0,1] neg_hi:[0,1]
	v_fmac_f32_e32 v1, 0x3e9e377a, v10
	v_mul_f32_e32 v10, 0x3f4f1bbd, v92
	ds_write_b64 v111, v[66:67] offset:32
	v_mov_b32_e32 v66, v109
	v_mov_b32_e32 v67, v64
	;; [unrolled: 1-line block ×4, first 2 shown]
	v_fma_f32 v36, v94, s9, -v10
	v_pk_add_f32 v[64:65], v[66:67], v[64:65] neg_lo:[0,1] neg_hi:[0,1]
	v_cmp_gt_u32_e64 s[2:3], 45, v0
	v_add_f32_e32 v32, v1, v36
	v_mov_b32_e32 v12, v43
	v_mov_b32_e32 v10, v29
	;; [unrolled: 1-line block ×3, first 2 shown]
	v_pk_add_f32 v[56:57], v[58:59], v[60:61] neg_lo:[0,1] neg_hi:[0,1]
	ds_write_b64 v111, v[64:65] offset:3632
	s_and_saveexec_b64 s[10:11], s[2:3]
	s_cbranch_execz .LBB0_15
; %bb.14:
	v_pk_add_f32 v[64:65], v[8:9], v[24:25] neg_lo:[0,1] neg_hi:[0,1]
	v_sub_f32_e32 v1, v1, v36
	v_add_f32_e32 v9, v64, v65
	v_mul_f32_e32 v36, 0x3e9e377a, v9
	v_add_f32_e32 v9, v24, v14
	s_mov_b32 s8, s7
	v_fmac_f32_e32 v46, -0.5, v9
	v_pk_mul_f32 v[54:55], v[54:55], s[8:9]
	s_nop 0
	v_add_f32_e32 v9, v54, v46
	v_sub_f32_e32 v47, v9, v55
	v_sub_f32_e32 v9, v46, v54
	v_add_f32_e32 v46, v55, v9
	v_pk_add_f32 v[54:55], v[58:59], v[60:61]
	v_pk_mul_f32 v[58:59], v[84:85], s[6:7]
	v_pk_add_f32 v[46:47], v[36:37], v[46:47] op_sel_hi:[0,1]
	v_pk_fma_f32 v[60:61], v[86:87], s[6:7], v[58:59] op_sel:[0,0,1] op_sel_hi:[1,1,0]
	v_pk_fma_f32 v[58:59], v[86:87], s[6:7], v[58:59] op_sel:[0,0,1] op_sel_hi:[1,1,0] neg_lo:[0,0,1] neg_hi:[0,0,1]
	v_add_u32_e32 v9, 0x1c20, v111
	v_mov_b32_e32 v61, v59
	v_pk_add_f32 v[58:59], v[46:47], v[60:61]
	ds_write2_b64 v9, v[54:55], v[58:59] offset1:1
	v_add_u32_e32 v9, 0x1c34, v111
	ds_write2_b32 v9, v56, v57 offset1:1
	v_pk_add_f32 v[46:47], v[46:47], v[60:61] neg_lo:[0,1] neg_hi:[0,1]
	v_add_u32_e32 v9, 0x1c3c, v111
	ds_write2_b32 v9, v46, v47 offset1:1
	v_add_u32_e32 v9, 0x1c00, v111
	ds_write2_b32 v9, v32, v1 offset0:12 offset1:17
.LBB0_15:
	s_or_b64 exec, exec, s[10:11]
	s_movk_i32 s6, 0xffdc
	v_mad_i32_i24 v1, v0, s6, v111
	v_add_u32_e32 v9, 0xa00, v1
	s_waitcnt lgkmcnt(0)
	s_barrier
	ds_read2_b32 v[82:83], v9 offset0:110 offset1:200
	v_add_u32_e32 v9, 0x1600, v1
	ds_read2_b32 v[80:81], v9 offset0:92 offset1:182
	v_add_u32_e32 v9, 0x200, v1
	;; [unrolled: 2-line block ×6, first 2 shown]
	v_add_u32_e32 v74, 0x168, v0
	ds_read2_b32 v[64:65], v9 offset0:68 offset1:158
	v_add_u32_e32 v9, 0x1400, v1
	v_add_u32_e32 v106, 0x1c2, v0
	v_lshl_add_u32 v44, v74, 2, 0
	v_add_u32_e32 v104, 0x276, v0
	v_add_u32_e32 v105, 0x21c, v0
	ds_read2_b32 v[60:61], v9 offset0:10 offset1:100
	v_add_u32_e32 v9, 0x1e00, v1
	ds_read2_b32 v[54:55], v1 offset1:90
	v_lshl_add_u32 v72, v106, 2, 0
	v_lshl_add_u32 v107, v105, 2, 0
	ds_read2_b32 v[58:59], v9 offset0:120 offset1:210
	v_lshl_add_u32 v108, v104, 2, 0
	ds_read_b32 v110, v44
	ds_read_b32 v109, v72
	;; [unrolled: 1-line block ×4, first 2 shown]
	v_cmp_gt_u32_e32 vcc, 30, v0
	s_and_saveexec_b64 s[6:7], vcc
	s_cbranch_execz .LBB0_17
; %bb.16:
	ds_read_b32 v32, v1 offset:2880
	ds_read_b32 v56, v1 offset:5880
	;; [unrolled: 1-line block ×3, first 2 shown]
.LBB0_17:
	s_or_b64 exec, exec, s[6:7]
	v_add_f32_e32 v9, v31, v35
	v_mov_b32_e32 v118, v41
	v_fmac_f32_e32 v118, -0.5, v9
	v_add_f32_e32 v9, v43, v53
	v_sub_f32_e32 v112, v51, v30
	v_pk_add_f32 v[114:115], v[52:53], v[34:35]
	v_pk_add_f32 v[50:51], v[52:53], v[34:35] neg_lo:[0,1] neg_hi:[0,1]
	v_mul_f32_e32 v9, 0.5, v9
	v_mov_b32_e32 v34, v31
	v_mov_b32_e32 v52, v43
	v_pk_add_f32 v[116:117], v[42:43], v[30:31] neg_lo:[0,1] neg_hi:[0,1]
	v_pk_add_f32 v[34:35], v[34:35], v[52:53] neg_lo:[0,1] neg_hi:[0,1]
	v_mov_b32_e32 v43, v9
	s_mov_b32 s8, 0x3f167918
	v_add_f32_e32 v14, v34, v35
	v_pk_add_f32 v[34:35], v[40:41], v[42:43] neg_lo:[0,1] neg_hi:[0,1]
	s_mov_b32 s9, 0x3f737871
	v_mov_b32_e32 v113, v34
	v_pk_mul_f32 v[40:41], v[112:113], s[8:9]
	v_mov_b32_e32 v115, v51
	v_sub_f32_e32 v9, v118, v41
	v_sub_f32_e32 v43, v9, v40
	v_add_f32_e32 v9, v41, v118
	v_mul_f32_e32 v51, 0x3f737871, v112
	v_add_f32_e32 v9, v40, v9
	v_mov_b32_e32 v50, 0x3f167918
	v_pk_mul_f32 v[40:41], v[34:35], s[8:9]
	v_pk_add_f32 v[52:53], v[34:35], v[50:51]
	v_fmamk_f32 v112, v112, 0xbf737871, v35
	v_mov_b32_e32 v113, v40
	v_pk_fma_f32 v[34:35], v[34:35], v[50:51], v[112:113]
	v_pk_add_f32 v[40:41], v[52:53], v[112:113] neg_lo:[0,1] neg_hi:[0,1]
	v_mov_b32_e32 v116, v39
	v_mov_b32_e32 v35, v41
	v_pk_add_f32 v[40:41], v[116:117], v[114:115]
	v_mov_b32_e32 v53, 0x3e9e377a
	v_mov_b32_e32 v52, v33
	v_pk_add_f32 v[112:113], v[52:53], v[40:41]
	v_pk_mul_f32 v[40:41], v[52:53], v[40:41]
	v_mov_b32_e32 v42, v37
	v_mov_b32_e32 v113, v41
	s_mov_b32 s12, 0xbf167918
	s_mov_b32 s6, 0xbf737871
	v_add_f32_e32 v30, v41, v9
	v_pk_add_f32 v[40:41], v[42:43], v[112:113]
	s_mov_b32 s13, 0x3f4f1bbd
	v_mov_b32_e32 v42, v31
	s_mov_b32 s7, 0x3e9e377a
	v_pk_add_f32 v[42:43], v[42:43], v[88:89]
	v_pk_mul_f32 v[112:113], v[88:89], s[12:13]
	v_add_f32_e32 v9, v17, v23
	v_mov_b32_e32 v31, v27
	v_mul_f32_e32 v14, 0x3e9e377a, v14
	s_mov_b32 s10, s9
	s_mov_b32 s11, s7
	v_mov_b32_e32 v43, v113
	v_pk_mul_f32 v[112:113], v[102:103], s[12:13]
	v_fmac_f32_e32 v31, -0.5, v9
	v_add_f32_e32 v9, v29, v49
	v_pk_add_f32 v[34:35], v[14:15], v[34:35] op_sel_hi:[0,1]
	v_pk_mul_f32 v[100:101], v[100:101], s[10:11]
	v_mov_b32_e32 v14, v113
	v_pk_add_f32 v[116:117], v[48:49], v[22:23]
	v_pk_add_f32 v[118:119], v[48:49], v[22:23] neg_lo:[0,1] neg_hi:[0,1]
	v_mul_f32_e32 v9, 0.5, v9
	v_mov_b32_e32 v22, v17
	v_mov_b32_e32 v48, v29
	v_pk_fma_f32 v[98:99], v[98:99], s[6:7], v[100:101] op_sel:[0,0,1] op_sel_hi:[1,1,0] neg_lo:[0,0,1] neg_hi:[0,0,1]
	v_pk_fma_f32 v[102:103], v[102:103], s[12:13], v[14:15] neg_lo:[0,0,1] neg_hi:[0,0,1]
	v_mov_b32_e32 v117, v119
	v_pk_add_f32 v[118:119], v[28:29], v[16:17] neg_lo:[0,1] neg_hi:[0,1]
	v_pk_add_f32 v[22:23], v[22:23], v[48:49] neg_lo:[0,1] neg_hi:[0,1]
	v_mov_b32_e32 v29, v9
	v_pk_add_f32 v[100:101], v[34:35], v[98:99]
	v_mov_b32_e32 v113, v35
	v_mov_b32_e32 v35, v30
	;; [unrolled: 1-line block ×4, first 2 shown]
	v_add_f32_e32 v14, v22, v23
	v_pk_add_f32 v[22:23], v[26:27], v[28:29] neg_lo:[0,1] neg_hi:[0,1]
	v_pk_add_f32 v[34:35], v[34:35], v[114:115] neg_lo:[0,1] neg_hi:[0,1]
	v_sub_f32_e32 v114, v45, v16
	v_mov_b32_e32 v115, v22
	v_pk_mul_f32 v[26:27], v[114:115], s[8:9]
	v_mul_f32_e32 v51, 0x3f737871, v114
	v_sub_f32_e32 v9, v31, v27
	v_sub_f32_e32 v29, v9, v26
	v_add_f32_e32 v9, v27, v31
	v_add_f32_e32 v9, v26, v9
	v_pk_mul_f32 v[26:27], v[22:23], s[8:9]
	v_pk_add_f32 v[48:49], v[22:23], v[50:51]
	v_fmamk_f32 v114, v114, 0xbf737871, v23
	v_mov_b32_e32 v115, v26
	v_pk_fma_f32 v[22:23], v[22:23], v[50:51], v[114:115]
	v_pk_add_f32 v[26:27], v[48:49], v[114:115] neg_lo:[0,1] neg_hi:[0,1]
	v_mul_f32_e32 v14, 0x3e9e377a, v14
	v_mov_b32_e32 v23, v27
	v_mov_b32_e32 v118, v13
	;; [unrolled: 1-line block ×3, first 2 shown]
	v_pk_add_f32 v[26:27], v[118:119], v[116:117]
	v_mov_b32_e32 v52, v11
	v_mov_b32_e32 v28, v15
	v_pk_add_f32 v[14:15], v[14:15], v[22:23] op_sel_hi:[0,1]
	v_pk_mul_f32 v[22:23], v[70:71], s[10:11]
	v_pk_add_f32 v[70:71], v[16:17], v[62:63]
	v_pk_mul_f32 v[16:17], v[62:63], s[12:13]
	v_pk_add_f32 v[48:49], v[52:53], v[26:27]
	v_pk_mul_f32 v[26:27], v[52:53], v[26:27]
	v_mov_b32_e32 v71, v17
	v_pk_mul_f32 v[16:17], v[90:91], s[12:13]
	v_mov_b32_e32 v49, v27
	v_mov_b32_e32 v16, v17
	v_add_f32_e32 v52, v27, v9
	v_pk_add_f32 v[28:29], v[28:29], v[48:49]
	v_pk_fma_f32 v[48:49], v[68:69], s[6:7], v[22:23] op_sel:[0,0,1] op_sel_hi:[1,1,0] neg_lo:[0,0,1] neg_hi:[0,0,1]
	v_pk_fma_f32 v[90:91], v[90:91], s[12:13], v[16:17] neg_lo:[0,0,1] neg_hi:[0,0,1]
	v_pk_add_f32 v[68:69], v[14:15], v[48:49]
	v_mov_b32_e32 v115, v15
	v_mov_b32_e32 v15, v52
	;; [unrolled: 1-line block ×4, first 2 shown]
	v_pk_add_f32 v[116:117], v[14:15], v[16:17] neg_lo:[0,1] neg_hi:[0,1]
	v_pk_add_f32 v[14:15], v[20:21], v[6:7]
	v_mov_b32_e32 v16, v5
	v_mov_b32_e32 v14, v15
	v_pk_add_f32 v[14:15], v[20:21], v[14:15]
	v_mov_b32_e32 v22, v5
	v_pk_add_f32 v[14:15], v[4:5], v[14:15]
	v_mov_b32_e32 v23, v21
	v_pk_add_f32 v[14:15], v[16:17], v[14:15]
	v_pk_add_f32 v[16:17], v[4:5], v[20:21]
	v_mov_b32_e32 v5, v20
	v_pk_add_f32 v[20:21], v[22:23], v[4:5] neg_lo:[0,1] neg_hi:[0,1]
	v_mul_f32_e32 v9, 0.5, v16
	v_add_f32_e32 v11, v20, v21
	v_mul_f32_e32 v26, 0x3e9e377a, v11
	v_mul_f32_e32 v11, 0.5, v17
	v_pk_add_f32 v[16:17], v[18:19], v[96:97]
	v_pk_add_f32 v[18:19], v[6:7], v[8:9] neg_lo:[0,1] neg_hi:[0,1]
	v_mov_b32_e32 v6, v25
	v_mov_b32_e32 v25, v11
	v_pk_add_f32 v[20:21], v[6:7], v[24:25] neg_lo:[0,1] neg_hi:[0,1]
	v_pk_mul_f32 v[6:7], v[18:19], s[8:9]
	v_mul_f32_e32 v51, 0x3f737871, v20
	v_pk_add_f32 v[8:9], v[18:19], v[50:51] neg_lo:[0,1] neg_hi:[0,1]
	v_fmamk_f32 v24, v20, 0x3f737871, v19
	v_mov_b32_e32 v25, v6
	v_mul_f32_e32 v13, 0x3f167918, v73
	v_pk_fma_f32 v[6:7], v[18:19], v[50:51], v[24:25]
	v_pk_add_f32 v[8:9], v[8:9], v[24:25] neg_lo:[0,1] neg_hi:[0,1]
	v_pk_add_f32 v[42:43], v[42:43], v[12:13]
	v_pk_fma_f32 v[12:13], v[88:89], s[12:13], v[12:13] neg_lo:[0,0,1] neg_hi:[0,0,1]
	v_mov_b32_e32 v7, v9
	s_mov_b32 s14, 0xbf4f1bbd
	s_mov_b32 s15, s12
	v_mov_b32_e32 v12, v42
	v_mul_f32_e32 v11, 0x3f167918, v75
	v_mov_b32_e32 v112, v41
	v_pk_add_f32 v[24:25], v[26:27], v[6:7] op_sel_hi:[0,1]
	v_pk_mul_f32 v[6:7], v[94:95], s[14:15]
	v_sub_f32_e32 v31, v14, v17
	v_pk_add_f32 v[88:89], v[40:41], v[12:13]
	v_pk_add_f32 v[40:41], v[42:43], v[40:41] neg_lo:[0,1] neg_hi:[0,1]
	v_pk_add_f32 v[42:43], v[70:71], v[10:11]
	v_pk_fma_f32 v[10:11], v[62:63], s[12:13], v[10:11] neg_lo:[0,0,1] neg_hi:[0,0,1]
	v_pk_fma_f32 v[26:27], v[92:93], s[12:13], v[6:7]
	v_pk_add_f32 v[92:93], v[30:31], v[102:103]
	v_mov_b32_e32 v98, v13
	v_mov_b32_e32 v10, v42
	;; [unrolled: 1-line block ×3, first 2 shown]
	v_pk_add_f32 v[6:7], v[24:25], v[26:27]
	v_pk_add_f32 v[12:13], v[112:113], v[98:99] neg_lo:[0,1] neg_hi:[0,1]
	v_pk_add_f32 v[70:71], v[28:29], v[10:11]
	v_pk_add_f32 v[28:29], v[42:43], v[28:29] neg_lo:[0,1] neg_hi:[0,1]
	v_mov_b32_e32 v42, v101
	v_mov_b32_e32 v43, v100
	;; [unrolled: 1-line block ×3, first 2 shown]
	v_pk_add_f32 v[52:53], v[52:53], v[90:91]
	v_mov_b32_e32 v48, v11
	s_waitcnt lgkmcnt(0)
	s_barrier
	ds_write2_b64 v111, v[88:89], v[42:43] offset1:1
	ds_write2_b64 v111, v[92:93], v[12:13] offset0:2 offset1:3
	ds_write_b64 v111, v[34:35] offset:32
	v_add_u32_e32 v7, 0xe10, v111
	v_mov_b32_e32 v12, v69
	v_mov_b32_e32 v13, v68
	v_pk_add_f32 v[8:9], v[24:25], v[26:27] neg_lo:[0,1] neg_hi:[0,1]
	v_pk_add_f32 v[10:11], v[114:115], v[48:49] neg_lo:[0,1] neg_hi:[0,1]
	v_add_u32_e32 v63, 0xb4, v0
	ds_write2_b64 v7, v[70:71], v[12:13] offset1:1
	v_add_u32_e32 v7, 0xe20, v111
	v_mov_b32_e32 v53, v28
	ds_write2_b64 v7, v[52:53], v[10:11] offset1:1
	ds_write_b64 v111, v[116:117] offset:3632
	s_and_saveexec_b64 s[12:13], s[2:3]
	s_cbranch_execz .LBB0_19
; %bb.18:
	v_mul_f32_e32 v51, 0x3f737871, v18
	v_pk_mul_f32 v[10:11], v[20:21], s[8:9]
	v_pk_add_f32 v[4:5], v[4:5], v[22:23] neg_lo:[0,1] neg_hi:[0,1]
	v_pk_add_f32 v[12:13], v[20:21], v[50:51]
	v_fmamk_f32 v18, v18, 0xbf737871, v21
	v_mov_b32_e32 v19, v10
	v_add_f32_e32 v4, v4, v5
	v_pk_fma_f32 v[10:11], v[20:21], v[50:51], v[18:19]
	v_pk_add_f32 v[12:13], v[12:13], v[18:19] neg_lo:[0,1] neg_hi:[0,1]
	v_mul_f32_e32 v4, 0x3e9e377a, v4
	v_mov_b32_e32 v11, v13
	v_pk_mul_f32 v[12:13], v[86:87], s[10:11]
	v_pk_add_f32 v[4:5], v[4:5], v[10:11] op_sel_hi:[0,1]
	v_pk_fma_f32 v[12:13], v[84:85], s[6:7], v[12:13] op_sel:[0,0,1] op_sel_hi:[1,1,0] neg_lo:[0,0,1] neg_hi:[0,0,1]
	v_mov_b32_e32 v24, v17
	v_mov_b32_e32 v15, v27
	v_pk_add_f32 v[10:11], v[24:25], v[14:15]
	v_pk_add_f32 v[14:15], v[4:5], v[12:13]
	v_pk_add_f32 v[4:5], v[4:5], v[12:13] neg_lo:[0,1] neg_hi:[0,1]
	v_mad_u32_u24 v16, v63, 40, 0
	v_mov_b32_e32 v12, v15
	v_mov_b32_e32 v13, v14
	ds_write2_b64 v16, v[10:11], v[12:13] offset1:1
	v_mov_b32_e32 v7, v31
	v_mov_b32_e32 v10, v9
	;; [unrolled: 1-line block ×4, first 2 shown]
	ds_write_b64 v16, v[6:7] offset:16
	ds_write2_b64 v16, v[10:11], v[4:5] offset0:3 offset1:4
.LBB0_19:
	s_or_b64 exec, exec, s[12:13]
	v_add_u32_e32 v7, 0xa00, v1
	s_waitcnt lgkmcnt(0)
	s_barrier
	ds_read2_b32 v[26:27], v7 offset0:110 offset1:200
	v_add_u32_e32 v7, 0x1600, v1
	ds_read2_b32 v[24:25], v7 offset0:92 offset1:182
	v_add_u32_e32 v7, 0x200, v1
	;; [unrolled: 2-line block ×8, first 2 shown]
	ds_read2_b32 v[4:5], v1 offset1:90
	ds_read2_b32 v[10:11], v7 offset0:120 offset1:210
	ds_read_b32 v30, v44
	ds_read_b32 v29, v72
	;; [unrolled: 1-line block ×4, first 2 shown]
	s_and_saveexec_b64 s[2:3], vcc
	s_cbranch_execz .LBB0_21
; %bb.20:
	ds_read_b32 v6, v1 offset:2880
	ds_read_b32 v31, v1 offset:5880
	;; [unrolled: 1-line block ×3, first 2 shown]
.LBB0_21:
	s_or_b64 exec, exec, s[2:3]
	s_movk_i32 s2, 0xcd
	v_mul_lo_u16_sdwa v8, v0, s2 dst_sel:DWORD dst_unused:UNUSED_PAD src0_sel:BYTE_0 src1_sel:DWORD
	v_lshrrev_b16_e32 v73, 11, v8
	v_mul_lo_u16_e32 v8, 10, v73
	v_sub_u16_e32 v75, v0, v8
	v_mov_b32_e32 v35, 4
	v_lshlrev_b32_sdwa v8, v35, v75 dst_sel:DWORD dst_unused:UNUSED_PAD src0_sel:DWORD src1_sel:BYTE_0
	global_load_dwordx4 v[40:43], v8, s[4:5]
	v_add_u32_e32 v45, 0x5a, v0
	v_add_u32_e32 v62, 0x10e, v0
	;; [unrolled: 1-line block ×3, first 2 shown]
	s_mov_b32 s3, 0x5040100
	s_waitcnt vmcnt(0)
	v_mul_f32_e32 v33, v82, v41
	v_mul_f32_e32 v34, v80, v43
	s_waitcnt lgkmcnt(13)
	v_mul_f32_e32 v8, v26, v41
	v_fmac_f32_e32 v33, v26, v40
	s_waitcnt lgkmcnt(12)
	v_mul_f32_e32 v26, v24, v43
	v_fmac_f32_e32 v34, v24, v42
	v_mul_lo_u16_sdwa v24, v45, s2 dst_sel:DWORD dst_unused:UNUSED_PAD src0_sel:BYTE_0 src1_sel:DWORD
	v_fma_f32 v26, v80, v42, -v26
	v_lshrrev_b16_e32 v80, 11, v24
	v_mul_lo_u16_e32 v24, 10, v80
	v_fma_f32 v8, v82, v40, -v8
	v_sub_u16_e32 v82, v45, v24
	v_lshlrev_b32_sdwa v24, v35, v82 dst_sel:DWORD dst_unused:UNUSED_PAD src0_sel:DWORD src1_sel:BYTE_0
	global_load_dwordx4 v[40:43], v24, s[4:5]
	s_mov_b32 s2, 0xcccd
	v_add_f32_e32 v49, v8, v26
	s_waitcnt vmcnt(0)
	v_mul_f32_e32 v35, v83, v41
	v_mul_f32_e32 v37, v81, v43
	;; [unrolled: 1-line block ×3, first 2 shown]
	v_fmac_f32_e32 v35, v27, v40
	v_mul_f32_e32 v27, v25, v43
	v_fmac_f32_e32 v37, v25, v42
	v_mul_u32_u24_sdwa v25, v63, s2 dst_sel:DWORD dst_unused:UNUSED_PAD src0_sel:WORD_0 src1_sel:DWORD
	v_fma_f32 v27, v81, v42, -v27
	v_lshrrev_b32_e32 v81, 19, v25
	v_mul_lo_u16_e32 v25, 10, v81
	v_fma_f32 v24, v83, v40, -v24
	v_sub_u16_e32 v83, v63, v25
	v_lshlrev_b32_e32 v25, 4, v83
	global_load_dwordx4 v[40:43], v25, s[4:5]
	s_waitcnt vmcnt(0) lgkmcnt(10)
	v_mul_f32_e32 v25, v22, v41
	v_mul_f32_e32 v39, v78, v41
	v_fma_f32 v25, v78, v40, -v25
	v_fmac_f32_e32 v39, v22, v40
	v_mul_f32_e32 v40, v76, v43
	s_waitcnt lgkmcnt(9)
	v_mul_f32_e32 v22, v20, v43
	v_fmac_f32_e32 v40, v20, v42
	v_mul_u32_u24_sdwa v20, v62, s2 dst_sel:DWORD dst_unused:UNUSED_PAD src0_sel:WORD_0 src1_sel:DWORD
	v_fma_f32 v22, v76, v42, -v22
	v_lshrrev_b32_e32 v76, 19, v20
	v_mul_lo_u16_e32 v20, 10, v76
	v_sub_u16_e32 v78, v62, v20
	v_lshlrev_b32_e32 v20, 4, v78
	global_load_dwordx4 v[50:53], v20, s[4:5]
	s_waitcnt vmcnt(0)
	v_mul_f32_e32 v41, v79, v51
	v_mul_f32_e32 v42, v77, v53
	;; [unrolled: 1-line block ×3, first 2 shown]
	v_fmac_f32_e32 v41, v23, v50
	v_mul_f32_e32 v23, v21, v53
	v_fmac_f32_e32 v42, v21, v52
	v_mul_u32_u24_sdwa v21, v74, s2 dst_sel:DWORD dst_unused:UNUSED_PAD src0_sel:WORD_0 src1_sel:DWORD
	v_fma_f32 v23, v77, v52, -v23
	v_lshrrev_b32_e32 v77, 19, v21
	v_mul_lo_u16_e32 v21, 10, v77
	v_fma_f32 v20, v79, v50, -v20
	v_sub_u16_e32 v79, v74, v21
	v_lshlrev_b32_e32 v21, 4, v79
	global_load_dwordx4 v[50:53], v21, s[4:5]
	s_waitcnt vmcnt(0) lgkmcnt(8)
	v_mul_f32_e32 v21, v18, v51
	v_mul_f32_e32 v43, v66, v51
	v_fma_f32 v21, v66, v50, -v21
	v_fmac_f32_e32 v43, v18, v50
	v_mul_f32_e32 v50, v64, v53
	s_waitcnt lgkmcnt(7)
	v_mul_f32_e32 v18, v16, v53
	v_fmac_f32_e32 v50, v16, v52
	v_mul_u32_u24_sdwa v16, v106, s2 dst_sel:DWORD dst_unused:UNUSED_PAD src0_sel:WORD_0 src1_sel:DWORD
	v_lshrrev_b32_e32 v84, 19, v16
	v_mul_lo_u16_e32 v16, 10, v84
	v_sub_u16_e32 v85, v106, v16
	v_lshlrev_b32_e32 v16, 4, v85
	global_load_dwordx4 v[68:71], v16, s[4:5]
	v_fma_f32 v18, v64, v52, -v18
	s_waitcnt vmcnt(0)
	v_mul_f32_e32 v51, v67, v69
	v_mul_f32_e32 v52, v65, v71
	;; [unrolled: 1-line block ×3, first 2 shown]
	v_fmac_f32_e32 v51, v19, v68
	v_mul_f32_e32 v19, v17, v71
	v_fmac_f32_e32 v52, v17, v70
	v_mul_u32_u24_sdwa v17, v105, s2 dst_sel:DWORD dst_unused:UNUSED_PAD src0_sel:WORD_0 src1_sel:DWORD
	v_lshrrev_b32_e32 v69, 19, v17
	v_mul_lo_u16_e32 v17, 10, v69
	v_fma_f32 v19, v65, v70, -v19
	v_sub_u16_e32 v70, v105, v17
	v_lshlrev_b32_e32 v17, 4, v70
	v_fma_f32 v16, v67, v68, -v16
	global_load_dwordx4 v[64:67], v17, s[4:5]
	s_waitcnt vmcnt(0)
	v_mul_f32_e32 v53, v60, v65
	s_waitcnt lgkmcnt(6)
	v_mul_f32_e32 v17, v14, v65
	v_fmac_f32_e32 v53, v14, v64
	s_waitcnt lgkmcnt(4)
	v_mul_f32_e32 v14, v10, v67
	v_fma_f32 v14, v58, v66, -v14
	v_mul_f32_e32 v58, v58, v67
	v_fmac_f32_e32 v58, v10, v66
	v_mul_u32_u24_sdwa v10, v104, s2 dst_sel:DWORD dst_unused:UNUSED_PAD src0_sel:WORD_0 src1_sel:DWORD
	v_lshrrev_b32_e32 v71, 19, v10
	v_mul_lo_u16_e32 v10, 10, v71
	v_sub_u16_e32 v86, v104, v10
	v_lshlrev_b32_e32 v10, 4, v86
	v_fma_f32 v17, v60, v64, -v17
	global_load_dwordx4 v[64:67], v10, s[4:5]
	s_waitcnt vmcnt(0)
	v_mul_f32_e32 v60, v61, v65
	v_mul_f32_e32 v10, v15, v65
	v_fmac_f32_e32 v60, v15, v64
	v_mul_f32_e32 v15, v11, v67
	v_fma_f32 v15, v59, v66, -v15
	v_mul_f32_e32 v59, v59, v67
	v_fmac_f32_e32 v59, v11, v66
	v_mul_u32_u24_sdwa v11, v48, s2 dst_sel:DWORD dst_unused:UNUSED_PAD src0_sel:WORD_0 src1_sel:DWORD
	v_lshrrev_b32_e32 v87, 19, v11
	v_mul_lo_u16_e32 v11, 10, v87
	v_sub_u16_e32 v88, v48, v11
	v_lshlrev_b32_e32 v11, 4, v88
	v_fma_f32 v10, v61, v64, -v10
	global_load_dwordx4 v[64:67], v11, s[4:5]
	s_waitcnt lgkmcnt(0)
	s_barrier
	s_movk_i32 s2, 0x78
	s_waitcnt vmcnt(0)
	v_mul_f32_e32 v61, v56, v65
	v_mul_f32_e32 v11, v31, v65
	v_fmac_f32_e32 v61, v31, v64
	v_mul_f32_e32 v31, v9, v67
	v_fma_f32 v11, v56, v64, -v11
	v_fma_f32 v56, v57, v66, -v31
	v_mul_f32_e32 v31, v57, v67
	v_fmac_f32_e32 v31, v9, v66
	v_add_f32_e32 v9, v54, v8
	v_fma_f32 v54, -0.5, v49, v54
	v_sub_f32_e32 v49, v33, v34
	v_fmamk_f32 v64, v49, 0x3f5db3d7, v54
	v_fmac_f32_e32 v54, 0xbf5db3d7, v49
	v_add_f32_e32 v49, v55, v24
	v_add_f32_e32 v65, v49, v27
	;; [unrolled: 1-line block ×3, first 2 shown]
	v_fmac_f32_e32 v55, -0.5, v49
	v_sub_f32_e32 v49, v35, v37
	v_fmamk_f32 v66, v49, 0x3f5db3d7, v55
	v_fmac_f32_e32 v55, 0xbf5db3d7, v49
	v_add_f32_e32 v49, v46, v25
	v_add_f32_e32 v67, v49, v22
	;; [unrolled: 1-line block ×3, first 2 shown]
	v_fma_f32 v68, -0.5, v49, v46
	v_sub_f32_e32 v46, v39, v40
	v_fmamk_f32 v89, v46, 0x3f5db3d7, v68
	v_fmac_f32_e32 v68, 0xbf5db3d7, v46
	v_add_f32_e32 v46, v47, v20
	v_add_f32_e32 v90, v46, v23
	v_add_f32_e32 v46, v20, v23
	v_fmac_f32_e32 v47, -0.5, v46
	v_sub_f32_e32 v46, v41, v42
	v_fmamk_f32 v91, v46, 0x3f5db3d7, v47
	v_fmac_f32_e32 v47, 0xbf5db3d7, v46
	v_add_f32_e32 v46, v110, v21
	v_add_f32_e32 v92, v46, v18
	v_add_f32_e32 v46, v21, v18
	v_fmac_f32_e32 v110, -0.5, v46
	;; [unrolled: 7-line block ×5, first 2 shown]
	v_sub_f32_e32 v46, v60, v59
	v_fmamk_f32 v99, v46, 0x3f5db3d7, v36
	v_fmac_f32_e32 v36, 0xbf5db3d7, v46
	v_add_f32_e32 v46, v11, v56
	v_fma_f32 v46, -0.5, v46, v32
	v_sub_f32_e32 v57, v61, v31
	v_fmamk_f32 v49, v57, 0x3f5db3d7, v46
	v_fmac_f32_e32 v46, 0xbf5db3d7, v57
	v_mul_u32_u24_e32 v57, 0x78, v73
	v_mov_b32_e32 v73, 2
	v_lshlrev_b32_sdwa v75, v73, v75 dst_sel:DWORD dst_unused:UNUSED_PAD src0_sel:DWORD src1_sel:BYTE_0
	v_add_f32_e32 v9, v9, v26
	v_add3_u32 v57, 0, v57, v75
	ds_write2_b32 v57, v9, v64 offset1:10
	ds_write_b32 v57, v54 offset:80
	v_mul_u32_u24_e32 v9, 0x78, v80
	v_lshlrev_b32_sdwa v54, v73, v82 dst_sel:DWORD dst_unused:UNUSED_PAD src0_sel:DWORD src1_sel:BYTE_0
	v_add3_u32 v64, 0, v9, v54
	v_perm_b32 v9, v76, v81, s3
	v_pk_mul_lo_u16 v9, v9, s2 op_sel_hi:[1,0]
	ds_write2_b32 v64, v65, v66 offset1:10
	ds_write_b32 v64, v55 offset:80
	v_and_b32_e32 v54, 0xfff8, v9
	v_lshlrev_b32_e32 v55, 2, v83
	v_add3_u32 v65, 0, v54, v55
	v_lshrrev_b32_e32 v9, 16, v9
	v_lshlrev_b32_e32 v54, 2, v78
	v_add3_u32 v66, 0, v9, v54
	v_perm_b32 v9, v84, v77, s3
	v_pk_mul_lo_u16 v9, v9, s2 op_sel_hi:[1,0]
	ds_write2_b32 v65, v67, v89 offset1:10
	ds_write_b32 v65, v68 offset:80
	ds_write2_b32 v66, v90, v91 offset1:10
	ds_write_b32 v66, v47 offset:80
	v_and_b32_e32 v47, 0xfff8, v9
	v_lshlrev_b32_e32 v54, 2, v79
	v_add3_u32 v67, 0, v47, v54
	v_lshrrev_b32_e32 v9, 16, v9
	v_lshlrev_b32_e32 v47, 2, v85
	v_add3_u32 v68, 0, v9, v47
	v_perm_b32 v9, v71, v69, s3
	v_pk_mul_lo_u16 v9, v9, s2 op_sel_hi:[1,0]
	v_lshlrev_b32_e32 v54, 2, v70
	v_and_b32_e32 v47, 0xfff8, v9
	v_add3_u32 v71, 0, v47, v54
	ds_write2_b32 v67, v92, v93 offset1:10
	ds_write_b32 v67, v110 offset:80
	ds_write2_b32 v68, v94, v95 offset1:10
	ds_write_b32 v68, v109 offset:80
	;; [unrolled: 2-line block ×3, first 2 shown]
	v_lshrrev_b32_e32 v9, 16, v9
	v_lshlrev_b32_e32 v38, 2, v86
	v_add3_u32 v73, 0, v9, v38
	v_mul_lo_u16_e32 v69, 30, v87
	v_lshlrev_b32_e32 v70, 2, v88
	ds_write2_b32 v73, v98, v99 offset1:10
	ds_write_b32 v73, v36 offset:80
	s_and_saveexec_b64 s[2:3], vcc
	s_cbranch_execz .LBB0_23
; %bb.22:
	v_add_f32_e32 v9, v32, v11
	v_lshlrev_b32_e32 v32, 2, v69
	v_add_f32_e32 v9, v9, v56
	v_add3_u32 v32, 0, v70, v32
	ds_write2_b32 v32, v9, v49 offset1:10
	ds_write_b32 v32, v46 offset:80
.LBB0_23:
	s_or_b64 exec, exec, s[2:3]
	v_add_f32_e32 v9, v4, v33
	v_add_f32_e32 v75, v9, v34
	;; [unrolled: 1-line block ×3, first 2 shown]
	v_fma_f32 v4, -0.5, v9, v4
	v_sub_f32_e32 v8, v8, v26
	v_fmamk_f32 v76, v8, 0xbf5db3d7, v4
	v_fmac_f32_e32 v4, 0x3f5db3d7, v8
	v_add_f32_e32 v8, v5, v35
	v_add_f32_e32 v78, v8, v37
	;; [unrolled: 1-line block ×3, first 2 shown]
	v_fmac_f32_e32 v5, -0.5, v8
	v_sub_f32_e32 v8, v24, v27
	v_fmamk_f32 v79, v8, 0xbf5db3d7, v5
	v_fmac_f32_e32 v5, 0x3f5db3d7, v8
	v_add_f32_e32 v8, v12, v39
	v_add_f32_e32 v80, v8, v40
	;; [unrolled: 1-line block ×3, first 2 shown]
	v_fma_f32 v40, -0.5, v8, v12
	v_sub_f32_e32 v8, v25, v22
	v_fmamk_f32 v22, v8, 0xbf5db3d7, v40
	v_fmac_f32_e32 v40, 0x3f5db3d7, v8
	v_add_f32_e32 v8, v13, v41
	v_add_f32_e32 v81, v8, v42
	v_add_f32_e32 v8, v41, v42
	v_fmac_f32_e32 v13, -0.5, v8
	v_sub_f32_e32 v8, v20, v23
	v_fmamk_f32 v23, v8, 0xbf5db3d7, v13
	v_fmac_f32_e32 v13, 0x3f5db3d7, v8
	v_add_f32_e32 v8, v30, v43
	v_add_f32_e32 v82, v8, v50
	v_add_f32_e32 v8, v43, v50
	v_fmac_f32_e32 v30, -0.5, v8
	;; [unrolled: 7-line block ×5, first 2 shown]
	v_sub_f32_e32 v8, v10, v15
	v_fmamk_f32 v59, v8, 0xbf5db3d7, v7
	v_fmac_f32_e32 v7, 0x3f5db3d7, v8
	v_add_f32_e32 v8, v61, v31
	v_fma_f32 v47, -0.5, v8, v6
	v_sub_f32_e32 v8, v11, v56
	v_add_u32_e32 v43, 0xc00, v1
	v_add_u32_e32 v12, 0x1200, v1
	;; [unrolled: 1-line block ×10, first 2 shown]
	v_fmamk_f32 v50, v8, 0xbf5db3d7, v47
	v_fmac_f32_e32 v47, 0x3f5db3d7, v8
	s_waitcnt lgkmcnt(0)
	s_barrier
	ds_read2_b32 v[8:9], v1 offset1:90
	ds_read2_b32 v[38:39], v43 offset0:132 offset1:222
	ds_read2_b32 v[14:15], v12 offset0:108 offset1:198
	ds_read2_b32 v[36:37], v42 offset0:8 offset1:98
	ds_read2_b32 v[34:35], v20 offset0:28 offset1:118
	ds_read2_b32 v[32:33], v41 offset0:160 offset1:250
	ds_read2_b32 v[10:11], v53 offset0:52 offset1:142
	ds_read2_b32 v[26:27], v52 offset0:56 offset1:146
	ds_read2_b32 v[24:25], v51 offset0:60 offset1:150
	ds_read2_b32 v[18:19], v55 offset0:80 offset1:170
	ds_read2_b32 v[16:17], v54 offset0:84 offset1:174
	ds_read_b32 v58, v72
	ds_read_b32 v56, v44
	ds_read_b32 v77, v1 offset:8640
	s_waitcnt lgkmcnt(0)
	s_barrier
	ds_write2_b32 v57, v75, v76 offset1:10
	ds_write_b32 v57, v4 offset:80
	ds_write2_b32 v64, v78, v79 offset1:10
	ds_write_b32 v64, v5 offset:80
	;; [unrolled: 2-line block ×8, first 2 shown]
	s_and_saveexec_b64 s[2:3], vcc
	s_cbranch_execz .LBB0_25
; %bb.24:
	v_add_f32_e32 v4, v6, v61
	v_lshlrev_b32_e32 v5, 2, v69
	v_add_f32_e32 v4, v4, v31
	v_add3_u32 v5, 0, v70, v5
	ds_write2_b32 v5, v4, v50 offset1:10
	ds_write_b32 v5, v47 offset:80
.LBB0_25:
	s_or_b64 exec, exec, s[2:3]
	s_movk_i32 s2, 0x89
	v_mul_lo_u16_sdwa v57, v0, s2 dst_sel:DWORD dst_unused:UNUSED_PAD src0_sel:BYTE_0 src1_sel:DWORD
	v_lshrrev_b16_e32 v82, 12, v57
	v_mul_lo_u16_e32 v57, 30, v82
	v_sub_u16_e32 v57, v0, v57
	v_mov_b32_e32 v73, 2
	v_mov_b32_e32 v75, 5
	v_lshlrev_b32_sdwa v85, v73, v57 dst_sel:DWORD dst_unused:UNUSED_PAD src0_sel:DWORD src1_sel:BYTE_0
	v_lshlrev_b32_sdwa v57, v75, v57 dst_sel:DWORD dst_unused:UNUSED_PAD src0_sel:DWORD src1_sel:BYTE_0
	s_waitcnt lgkmcnt(0)
	s_barrier
	ds_read2_b32 v[4:5], v1 offset1:90
	ds_read_b32 v60, v72
	ds_read2_b32 v[86:87], v43 offset0:132 offset1:222
	ds_read2_b32 v[12:13], v12 offset0:108 offset1:198
	;; [unrolled: 1-line block ×10, first 2 shown]
	ds_read_b32 v40, v44
	ds_read_b32 v100, v1 offset:8640
	global_load_dwordx4 v[64:67], v57, s[4:5] offset:176
	global_load_dwordx4 v[68:71], v57, s[4:5] offset:160
	s_waitcnt vmcnt(0) lgkmcnt(12)
	v_mul_f32_e32 v57, v60, v69
	v_fma_f32 v59, v58, v68, -v57
	v_mul_f32_e32 v57, v58, v69
	s_waitcnt lgkmcnt(11)
	v_mul_f32_e32 v58, v86, v71
	v_fmac_f32_e32 v57, v60, v68
	v_fma_f32 v60, v38, v70, -v58
	s_waitcnt lgkmcnt(10)
	v_mul_f32_e32 v58, v13, v65
	v_fma_f32 v61, v15, v64, -v58
	v_mul_f32_e32 v58, v15, v65
	v_fmac_f32_e32 v58, v13, v64
	s_waitcnt lgkmcnt(9)
	v_mul_f32_e32 v13, v88, v67
	v_fma_f32 v65, v36, v66, -v13
	v_mul_lo_u16_sdwa v13, v45, s2 dst_sel:DWORD dst_unused:UNUSED_PAD src0_sel:BYTE_0 src1_sel:DWORD
	v_lshrrev_b16_e32 v13, 12, v13
	v_mul_lo_u16_e32 v15, 30, v13
	v_sub_u16_e32 v64, v45, v15
	v_mul_f32_e32 v38, v38, v71
	v_lshlrev_b32_sdwa v15, v73, v64 dst_sel:DWORD dst_unused:UNUSED_PAD src0_sel:DWORD src1_sel:BYTE_0
	v_lshlrev_b32_sdwa v64, v75, v64 dst_sel:DWORD dst_unused:UNUSED_PAD src0_sel:DWORD src1_sel:BYTE_0
	v_fmac_f32_e32 v38, v86, v70
	global_load_dwordx4 v[78:81], v64, s[4:5] offset:176
	global_load_dwordx4 v[68:71], v64, s[4:5] offset:160
	v_mul_f32_e32 v36, v36, v67
	v_fmac_f32_e32 v36, v88, v66
	s_mov_b32 s2, 0x8889
	s_waitcnt vmcnt(1)
	v_mul_f32_e32 v66, v32, v79
	s_waitcnt vmcnt(0) lgkmcnt(8)
	v_mul_f32_e32 v64, v90, v69
	v_fma_f32 v67, v34, v68, -v64
	v_mul_f32_e32 v64, v34, v69
	v_mul_f32_e32 v34, v87, v71
	v_fmac_f32_e32 v64, v90, v68
	v_fma_f32 v68, v39, v70, -v34
	s_waitcnt lgkmcnt(7)
	v_mul_f32_e32 v34, v98, v79
	v_fma_f32 v69, v32, v78, -v34
	v_mul_f32_e32 v32, v89, v81
	v_mul_f32_e32 v39, v39, v71
	v_fma_f32 v71, v37, v80, -v32
	v_mul_u32_u24_sdwa v32, v63, s2 dst_sel:DWORD dst_unused:UNUSED_PAD src0_sel:WORD_0 src1_sel:DWORD
	v_lshrrev_b32_e32 v92, 20, v32
	v_mul_lo_u16_e32 v32, 30, v92
	v_sub_u16_e32 v32, v63, v32
	v_mul_f32_e32 v37, v37, v81
	v_lshlrev_b32_e32 v93, 2, v32
	v_lshlrev_b32_e32 v32, 5, v32
	v_fmac_f32_e32 v39, v87, v70
	v_fmac_f32_e32 v37, v89, v80
	global_load_dwordx4 v[86:89], v32, s[4:5] offset:176
	global_load_dwordx4 v[94:97], v32, s[4:5] offset:160
	v_fmac_f32_e32 v66, v98, v78
	s_waitcnt vmcnt(1)
	v_mul_f32_e32 v76, v24, v89
	s_waitcnt vmcnt(0)
	v_mul_f32_e32 v32, v91, v95
	v_fma_f32 v78, v35, v94, -v32
	s_waitcnt lgkmcnt(5)
	v_mul_f32_e32 v32, v30, v97
	v_fma_f32 v79, v26, v96, -v32
	v_mul_f32_e32 v73, v26, v97
	v_mul_f32_e32 v26, v99, v87
	v_fma_f32 v80, v33, v86, -v26
	s_waitcnt lgkmcnt(4)
	v_mul_f32_e32 v26, v28, v89
	v_fma_f32 v83, v24, v88, -v26
	v_mul_u32_u24_sdwa v24, v62, s2 dst_sel:DWORD dst_unused:UNUSED_PAD src0_sel:WORD_0 src1_sel:DWORD
	v_fmac_f32_e32 v76, v28, v88
	v_lshrrev_b32_e32 v28, 20, v24
	v_mul_lo_u16_e32 v24, 30, v28
	v_sub_u16_e32 v24, v62, v24
	v_mul_f32_e32 v70, v35, v95
	v_lshlrev_b32_e32 v98, 2, v24
	v_lshlrev_b32_e32 v24, 5, v24
	v_fmac_f32_e32 v70, v91, v94
	v_fmac_f32_e32 v73, v30, v96
	v_mul_f32_e32 v75, v33, v87
	global_load_dwordx4 v[32:35], v24, s[4:5] offset:176
	global_load_dwordx4 v[94:97], v24, s[4:5] offset:160
	v_fmac_f32_e32 v75, v99, v86
	s_waitcnt vmcnt(1)
	v_mul_f32_e32 v86, v16, v33
	s_waitcnt vmcnt(0) lgkmcnt(3)
	v_mul_f32_e32 v24, v22, v95
	v_fma_f32 v88, v18, v94, -v24
	v_mul_f32_e32 v81, v18, v95
	v_mul_f32_e32 v18, v31, v97
	v_fma_f32 v89, v27, v96, -v18
	s_waitcnt lgkmcnt(2)
	v_mul_f32_e32 v18, v20, v33
	v_fma_f32 v90, v16, v32, -v18
	v_mul_f32_e32 v16, v29, v35
	v_fma_f32 v91, v25, v34, -v16
	v_mul_u32_u24_sdwa v16, v74, s2 dst_sel:DWORD dst_unused:UNUSED_PAD src0_sel:WORD_0 src1_sel:DWORD
	v_fmac_f32_e32 v81, v22, v94
	v_lshrrev_b32_e32 v22, 20, v16
	v_mul_lo_u16_e32 v16, 30, v22
	v_mul_f32_e32 v87, v25, v35
	v_sub_u16_e32 v16, v74, v16
	v_fmac_f32_e32 v87, v29, v34
	v_lshlrev_b32_e32 v29, 2, v16
	v_lshlrev_b32_e32 v16, 5, v16
	v_mul_f32_e32 v84, v27, v97
	v_fmac_f32_e32 v86, v20, v32
	global_load_dwordx4 v[24:27], v16, s[4:5] offset:176
	global_load_dwordx4 v[32:35], v16, s[4:5] offset:160
	v_sub_f32_e32 v18, v38, v58
	v_sub_f32_e32 v20, v65, v61
	v_fmac_f32_e32 v84, v31, v96
	s_mov_b32 s2, 0x3e9e377a
	s_mov_b32 s3, 0x3f167918
	s_waitcnt lgkmcnt(0)
	s_barrier
	s_waitcnt vmcnt(1)
	v_mul_f32_e32 v95, v77, v27
	s_waitcnt vmcnt(0)
	v_mul_f32_e32 v16, v23, v33
	v_fma_f32 v30, v19, v32, -v16
	v_mul_f32_e32 v94, v19, v33
	v_mul_f32_e32 v16, v12, v35
	v_fmac_f32_e32 v94, v23, v32
	v_fma_f32 v32, v14, v34, -v16
	v_mul_f32_e32 v33, v14, v35
	v_add_f32_e32 v14, v60, v61
	v_fma_f32 v14, -0.5, v14, v8
	v_sub_f32_e32 v16, v57, v36
	v_fmamk_f32 v23, v16, 0x3f737871, v14
	v_sub_f32_e32 v19, v59, v60
	v_fmac_f32_e32 v14, 0xbf737871, v16
	v_mul_f32_e32 v31, v12, v34
	v_mul_f32_e32 v12, v21, v25
	v_fmac_f32_e32 v23, 0x3f167918, v18
	v_add_f32_e32 v19, v19, v20
	v_fmac_f32_e32 v14, 0xbf167918, v18
	v_fma_f32 v96, v17, v24, -v12
	v_mul_f32_e32 v12, v100, v27
	v_fmac_f32_e32 v23, 0x3e9e377a, v19
	v_fmac_f32_e32 v14, 0x3e9e377a, v19
	v_add_f32_e32 v19, v59, v65
	v_mul_f32_e32 v17, v17, v25
	v_fma_f32 v97, v77, v26, -v12
	v_add_f32_e32 v12, v8, v59
	v_fma_f32 v8, -0.5, v19, v8
	v_fmac_f32_e32 v17, v21, v24
	v_fmamk_f32 v24, v18, 0xbf737871, v8
	v_fmac_f32_e32 v8, 0x3f737871, v18
	v_fmac_f32_e32 v24, 0x3f167918, v16
	v_fmac_f32_e32 v8, 0xbf167918, v16
	v_add_f32_e32 v16, v9, v67
	v_add_f32_e32 v16, v16, v68
	;; [unrolled: 1-line block ×3, first 2 shown]
	v_sub_f32_e32 v19, v60, v59
	v_sub_f32_e32 v20, v61, v65
	v_add_f32_e32 v25, v16, v71
	v_add_f32_e32 v16, v68, v69
	v_fmac_f32_e32 v95, v100, v26
	v_add_f32_e32 v19, v19, v20
	v_fma_f32 v26, -0.5, v16, v9
	v_sub_f32_e32 v16, v64, v37
	v_fmac_f32_e32 v24, 0x3e9e377a, v19
	v_fmac_f32_e32 v8, 0x3e9e377a, v19
	v_fmamk_f32 v27, v16, 0x3f737871, v26
	v_sub_f32_e32 v18, v39, v66
	v_sub_f32_e32 v19, v67, v68
	;; [unrolled: 1-line block ×3, first 2 shown]
	v_fmac_f32_e32 v26, 0xbf737871, v16
	v_fmac_f32_e32 v27, 0x3f167918, v18
	v_add_f32_e32 v19, v19, v20
	v_fmac_f32_e32 v26, 0xbf167918, v18
	v_fmac_f32_e32 v27, 0x3e9e377a, v19
	;; [unrolled: 1-line block ×3, first 2 shown]
	v_add_f32_e32 v19, v67, v71
	v_fmac_f32_e32 v9, -0.5, v19
	v_fmamk_f32 v99, v18, 0xbf737871, v9
	v_fmac_f32_e32 v9, 0x3f737871, v18
	v_fmac_f32_e32 v99, 0x3f167918, v16
	;; [unrolled: 1-line block ×3, first 2 shown]
	v_add_f32_e32 v16, v10, v78
	v_add_f32_e32 v16, v16, v79
	;; [unrolled: 1-line block ×3, first 2 shown]
	v_sub_f32_e32 v19, v68, v67
	v_sub_f32_e32 v20, v69, v71
	v_add_f32_e32 v100, v16, v83
	v_add_f32_e32 v16, v79, v80
	;; [unrolled: 1-line block ×3, first 2 shown]
	v_fma_f32 v101, -0.5, v16, v10
	v_sub_f32_e32 v16, v70, v76
	v_fmac_f32_e32 v99, 0x3e9e377a, v19
	v_fmac_f32_e32 v9, 0x3e9e377a, v19
	v_fmamk_f32 v102, v16, 0x3f737871, v101
	v_sub_f32_e32 v18, v73, v75
	v_sub_f32_e32 v19, v78, v79
	v_sub_f32_e32 v20, v83, v80
	v_fmac_f32_e32 v101, 0xbf737871, v16
	v_fmac_f32_e32 v102, 0x3f167918, v18
	v_add_f32_e32 v19, v19, v20
	v_fmac_f32_e32 v101, 0xbf167918, v18
	v_fmac_f32_e32 v102, 0x3e9e377a, v19
	;; [unrolled: 1-line block ×3, first 2 shown]
	v_add_f32_e32 v19, v78, v83
	v_fma_f32 v10, -0.5, v19, v10
	v_fmamk_f32 v103, v18, 0xbf737871, v10
	v_fmac_f32_e32 v10, 0x3f737871, v18
	v_fmac_f32_e32 v103, 0x3f167918, v16
	;; [unrolled: 1-line block ×3, first 2 shown]
	v_add_f32_e32 v16, v11, v88
	v_add_f32_e32 v16, v16, v89
	;; [unrolled: 1-line block ×3, first 2 shown]
	v_sub_f32_e32 v19, v79, v78
	v_sub_f32_e32 v20, v80, v83
	v_add_f32_e32 v109, v16, v91
	v_add_f32_e32 v16, v89, v90
	;; [unrolled: 1-line block ×3, first 2 shown]
	v_fma_f32 v110, -0.5, v16, v11
	v_sub_f32_e32 v16, v81, v87
	v_fmac_f32_e32 v103, 0x3e9e377a, v19
	v_fmac_f32_e32 v10, 0x3e9e377a, v19
	v_fmamk_f32 v111, v16, 0x3f737871, v110
	v_sub_f32_e32 v18, v84, v86
	v_sub_f32_e32 v19, v88, v89
	;; [unrolled: 1-line block ×3, first 2 shown]
	v_fmac_f32_e32 v110, 0xbf737871, v16
	v_fmac_f32_e32 v111, 0x3f167918, v18
	v_add_f32_e32 v19, v19, v20
	v_fmac_f32_e32 v110, 0xbf167918, v18
	v_fmac_f32_e32 v111, 0x3e9e377a, v19
	;; [unrolled: 1-line block ×3, first 2 shown]
	v_add_f32_e32 v19, v88, v91
	v_fmac_f32_e32 v11, -0.5, v19
	v_fmamk_f32 v112, v18, 0xbf737871, v11
	v_fmac_f32_e32 v11, 0x3f737871, v18
	v_fmac_f32_e32 v112, 0x3f167918, v16
	;; [unrolled: 1-line block ×3, first 2 shown]
	v_add_f32_e32 v16, v56, v30
	v_add_f32_e32 v16, v16, v32
	v_sub_f32_e32 v19, v89, v88
	v_sub_f32_e32 v20, v90, v91
	v_add_f32_e32 v16, v16, v96
	v_add_f32_e32 v19, v19, v20
	;; [unrolled: 1-line block ×4, first 2 shown]
	v_fmac_f32_e32 v112, 0x3e9e377a, v19
	v_fmac_f32_e32 v11, 0x3e9e377a, v19
	v_fma_f32 v77, -0.5, v16, v56
	v_sub_f32_e32 v16, v97, v96
	v_pk_add_f32 v[18:19], v[30:31], v[32:33] neg_lo:[0,1] neg_hi:[0,1]
	v_pk_add_f32 v[34:35], v[30:31], v[32:33]
	v_pk_add_f32 v[18:19], v[18:19], v[16:17]
	v_pk_add_f32 v[20:21], v[34:35], v[16:17] neg_lo:[0,1] neg_hi:[0,1]
	v_sub_f32_e32 v114, v94, v95
	v_mov_b32_e32 v19, v21
	v_fmamk_f32 v115, v114, 0x3f737871, v77
	v_pk_mul_f32 v[18:19], v[18:19], s[2:3]
	v_fmac_f32_e32 v77, 0xbf737871, v114
	v_add_f32_e32 v16, v19, v115
	v_add_f32_e32 v20, v18, v16
	v_sub_f32_e32 v16, v77, v19
	v_add_f32_e32 v77, v18, v16
	v_add_f32_e32 v16, v30, v97
	v_fmac_f32_e32 v56, -0.5, v16
	v_fmamk_f32 v18, v21, 0xbf737871, v56
	v_sub_f32_e32 v16, v32, v30
	v_sub_f32_e32 v19, v96, v97
	v_fmac_f32_e32 v56, 0x3f737871, v21
	v_add_f32_e32 v12, v12, v60
	v_fmac_f32_e32 v18, 0x3f167918, v114
	v_add_f32_e32 v16, v16, v19
	v_fmac_f32_e32 v56, 0xbf167918, v114
	v_add_f32_e32 v12, v12, v61
	v_fmac_f32_e32 v18, 0x3e9e377a, v16
	v_fmac_f32_e32 v56, 0x3e9e377a, v16
	v_mul_u32_u24_e32 v16, 0x258, v82
	v_add_f32_e32 v12, v12, v65
	v_add3_u32 v16, 0, v16, v85
	ds_write2_b32 v16, v12, v23 offset1:30
	ds_write2_b32 v16, v24, v8 offset0:60 offset1:90
	ds_write_b32 v16, v14 offset:480
	v_mul_u32_u24_e32 v8, 0x258, v13
	s_mov_b32 s3, 0x5040100
	s_movk_i32 s2, 0x258
	v_add3_u32 v31, 0, v8, v15
	v_perm_b32 v8, v28, v92, s3
	v_pk_mul_lo_u16 v8, v8, s2 op_sel_hi:[1,0]
	ds_write2_b32 v31, v25, v27 offset1:30
	ds_write2_b32 v31, v99, v9 offset0:60 offset1:90
	ds_write_b32 v31, v26 offset:480
	v_and_b32_e32 v9, 0xfff8, v8
	v_lshrrev_b32_e32 v8, 16, v8
	v_add3_u32 v34, 0, v8, v98
	v_mul_u32_u24_e32 v8, 0x258, v22
	v_add3_u32 v33, 0, v9, v93
	v_add3_u32 v82, 0, v8, v29
	v_add_u32_e32 v85, 0x1600, v1
	ds_write2_b32 v33, v100, v102 offset1:30
	ds_write2_b32 v33, v103, v10 offset0:60 offset1:90
	ds_write_b32 v33, v101 offset:480
	ds_write2_b32 v34, v109, v111 offset1:30
	ds_write2_b32 v34, v112, v11 offset0:60 offset1:90
	ds_write_b32 v34, v110 offset:480
	;; [unrolled: 3-line block ×3, first 2 shown]
	s_waitcnt lgkmcnt(0)
	s_barrier
	ds_read2_b32 v[10:11], v1 offset1:90
	ds_read2_b32 v[26:27], v55 offset0:110 offset1:200
	ds_read2_b32 v[28:29], v85 offset0:92 offset1:182
	;; [unrolled: 1-line block ×5, first 2 shown]
	ds_read_b32 v53, v44
	ds_read2_b32 v[20:21], v52 offset0:86 offset1:176
	ds_read2_b32 v[18:19], v42 offset0:68 offset1:158
	ds_read_b32 v54, v72
	ds_read_b32 v52, v107
	ds_read2_b32 v[14:15], v41 offset0:10 offset1:100
	ds_read2_b32 v[12:13], v51 offset0:120 offset1:210
	ds_read_b32 v55, v108
	v_lshl_add_u32 v51, v0, 2, 0
	s_and_saveexec_b64 s[2:3], vcc
	s_cbranch_execz .LBB0_27
; %bb.26:
	ds_read_b32 v49, v1 offset:5880
	ds_read_b32 v77, v51 offset:2880
	;; [unrolled: 1-line block ×3, first 2 shown]
.LBB0_27:
	s_or_b64 exec, exec, s[2:3]
	v_add_f32_e32 v42, v38, v58
	v_fma_f32 v42, -0.5, v42, v4
	v_sub_f32_e32 v43, v59, v65
	v_add_f32_e32 v41, v4, v57
	v_fmamk_f32 v59, v43, 0xbf737871, v42
	v_sub_f32_e32 v56, v60, v61
	v_sub_f32_e32 v60, v57, v38
	;; [unrolled: 1-line block ×3, first 2 shown]
	v_fmac_f32_e32 v42, 0x3f737871, v43
	v_add_f32_e32 v41, v41, v38
	v_fmac_f32_e32 v59, 0xbf167918, v56
	v_add_f32_e32 v60, v60, v61
	;; [unrolled: 2-line block ×3, first 2 shown]
	v_fmac_f32_e32 v59, 0x3e9e377a, v60
	v_fmac_f32_e32 v42, 0x3e9e377a, v60
	v_add_f32_e32 v60, v57, v36
	v_add_f32_e32 v41, v41, v36
	v_fma_f32 v4, -0.5, v60, v4
	v_sub_f32_e32 v38, v38, v57
	v_sub_f32_e32 v36, v58, v36
	v_fmamk_f32 v60, v56, 0x3f737871, v4
	v_add_f32_e32 v36, v38, v36
	v_fmac_f32_e32 v4, 0xbf737871, v56
	v_add_f32_e32 v38, v39, v66
	v_fmac_f32_e32 v60, 0xbf167918, v43
	v_fmac_f32_e32 v4, 0x3f167918, v43
	v_fma_f32 v38, -0.5, v38, v5
	v_sub_f32_e32 v43, v67, v71
	v_fmac_f32_e32 v60, 0x3e9e377a, v36
	v_fmac_f32_e32 v4, 0x3e9e377a, v36
	v_add_f32_e32 v36, v5, v64
	v_fmamk_f32 v57, v43, 0xbf737871, v38
	v_sub_f32_e32 v56, v68, v69
	v_sub_f32_e32 v58, v64, v39
	;; [unrolled: 1-line block ×3, first 2 shown]
	v_fmac_f32_e32 v38, 0x3f737871, v43
	v_add_f32_e32 v36, v36, v39
	v_fmac_f32_e32 v57, 0xbf167918, v56
	v_add_f32_e32 v58, v58, v61
	;; [unrolled: 2-line block ×3, first 2 shown]
	v_fmac_f32_e32 v57, 0x3e9e377a, v58
	v_fmac_f32_e32 v38, 0x3e9e377a, v58
	v_add_f32_e32 v58, v64, v37
	v_add_f32_e32 v36, v36, v37
	v_fmac_f32_e32 v5, -0.5, v58
	v_sub_f32_e32 v39, v39, v64
	v_sub_f32_e32 v37, v66, v37
	v_fmamk_f32 v58, v56, 0x3f737871, v5
	v_add_f32_e32 v37, v39, v37
	v_fmac_f32_e32 v5, 0xbf737871, v56
	v_add_f32_e32 v39, v73, v75
	v_fmac_f32_e32 v58, 0xbf167918, v43
	v_fmac_f32_e32 v5, 0x3f167918, v43
	v_fma_f32 v39, -0.5, v39, v6
	v_sub_f32_e32 v43, v78, v83
	v_fmamk_f32 v61, v43, 0xbf737871, v39
	v_sub_f32_e32 v56, v79, v80
	v_sub_f32_e32 v64, v70, v73
	;; [unrolled: 1-line block ×3, first 2 shown]
	v_fmac_f32_e32 v39, 0x3f737871, v43
	v_fmac_f32_e32 v61, 0xbf167918, v56
	v_add_f32_e32 v64, v64, v65
	v_fmac_f32_e32 v39, 0x3f167918, v56
	v_fmac_f32_e32 v61, 0x3e9e377a, v64
	;; [unrolled: 1-line block ×3, first 2 shown]
	v_add_f32_e32 v64, v70, v76
	v_fmac_f32_e32 v58, 0x3e9e377a, v37
	v_fmac_f32_e32 v5, 0x3e9e377a, v37
	v_add_f32_e32 v37, v6, v70
	v_fma_f32 v6, -0.5, v64, v6
	v_fmamk_f32 v64, v56, 0x3f737871, v6
	v_sub_f32_e32 v65, v73, v70
	v_sub_f32_e32 v66, v75, v76
	v_fmac_f32_e32 v6, 0xbf737871, v56
	v_fmac_f32_e32 v64, 0xbf167918, v43
	v_add_f32_e32 v65, v65, v66
	v_fmac_f32_e32 v6, 0x3f167918, v43
	v_add_f32_e32 v56, v84, v86
	v_fmac_f32_e32 v64, 0x3e9e377a, v65
	v_fmac_f32_e32 v6, 0x3e9e377a, v65
	v_fma_f32 v65, -0.5, v56, v7
	v_sub_f32_e32 v56, v88, v91
	v_fmamk_f32 v66, v56, 0xbf737871, v65
	v_sub_f32_e32 v67, v89, v90
	v_sub_f32_e32 v68, v81, v84
	;; [unrolled: 1-line block ×3, first 2 shown]
	v_fmac_f32_e32 v65, 0x3f737871, v56
	v_fmac_f32_e32 v66, 0xbf167918, v67
	v_add_f32_e32 v68, v68, v69
	v_fmac_f32_e32 v65, 0x3f167918, v67
	v_fmac_f32_e32 v66, 0x3e9e377a, v68
	;; [unrolled: 1-line block ×3, first 2 shown]
	v_add_f32_e32 v68, v81, v87
	v_add_f32_e32 v43, v7, v81
	v_fmac_f32_e32 v7, -0.5, v68
	v_fmamk_f32 v68, v67, 0x3f737871, v7
	v_fmac_f32_e32 v7, 0xbf737871, v67
	v_fmac_f32_e32 v68, 0xbf167918, v56
	;; [unrolled: 1-line block ×3, first 2 shown]
	v_add_f32_e32 v56, v40, v94
	v_add_f32_e32 v56, v56, v35
	;; [unrolled: 1-line block ×3, first 2 shown]
	v_sub_f32_e32 v69, v84, v81
	v_sub_f32_e32 v70, v86, v87
	v_add_f32_e32 v67, v56, v95
	v_add_f32_e32 v56, v35, v17
	v_add_f32_e32 v69, v69, v70
	v_fma_f32 v56, -0.5, v56, v40
	v_sub_f32_e32 v30, v30, v97
	v_fmac_f32_e32 v68, 0x3e9e377a, v69
	v_fmac_f32_e32 v7, 0x3e9e377a, v69
	v_fmamk_f32 v69, v30, 0xbf737871, v56
	v_sub_f32_e32 v32, v32, v96
	v_sub_f32_e32 v70, v94, v35
	;; [unrolled: 1-line block ×3, first 2 shown]
	v_fmac_f32_e32 v56, 0x3f737871, v30
	v_fmac_f32_e32 v69, 0xbf167918, v32
	v_add_f32_e32 v70, v70, v71
	v_fmac_f32_e32 v56, 0x3f167918, v32
	v_fmac_f32_e32 v69, 0x3e9e377a, v70
	;; [unrolled: 1-line block ×3, first 2 shown]
	v_add_f32_e32 v70, v94, v95
	v_fmac_f32_e32 v40, -0.5, v70
	v_add_f32_e32 v37, v37, v73
	v_add_f32_e32 v43, v43, v84
	v_fmamk_f32 v70, v32, 0x3f737871, v40
	v_sub_f32_e32 v35, v35, v94
	v_sub_f32_e32 v17, v17, v95
	v_fmac_f32_e32 v40, 0xbf737871, v32
	v_add_f32_e32 v37, v37, v75
	v_add_f32_e32 v43, v43, v86
	v_fmac_f32_e32 v70, 0xbf167918, v30
	v_add_f32_e32 v17, v35, v17
	v_fmac_f32_e32 v40, 0x3f167918, v30
	v_add_f32_e32 v37, v37, v76
	v_add_f32_e32 v43, v43, v87
	v_fmac_f32_e32 v70, 0x3e9e377a, v17
	v_fmac_f32_e32 v40, 0x3e9e377a, v17
	s_waitcnt lgkmcnt(0)
	s_barrier
	ds_write2_b32 v16, v41, v59 offset1:30
	ds_write2_b32 v16, v60, v4 offset0:60 offset1:90
	ds_write_b32 v16, v42 offset:480
	ds_write2_b32 v31, v36, v57 offset1:30
	ds_write2_b32 v31, v58, v5 offset0:60 offset1:90
	ds_write_b32 v31, v38 offset:480
	;; [unrolled: 3-line block ×5, first 2 shown]
	v_add_u32_e32 v6, 0xa00, v1
	s_waitcnt lgkmcnt(0)
	s_barrier
	ds_read2_b32 v[4:5], v1 offset1:90
	ds_read2_b32 v[42:43], v6 offset0:110 offset1:200
	ds_read2_b32 v[40:41], v85 offset0:92 offset1:182
	v_add_u32_e32 v6, 0x200, v1
	ds_read2_b32 v[16:17], v6 offset0:52 offset1:142
	v_add_u32_e32 v6, 0xc00, v1
	ds_read2_b32 v[36:37], v6 offset0:162 offset1:252
	v_add_u32_e32 v6, 0x1800, v1
	ds_read2_b32 v[38:39], v6 offset0:144 offset1:234
	v_add_u32_e32 v6, 0x1000, v1
	ds_read2_b32 v[34:35], v6 offset0:86 offset1:176
	v_add_u32_e32 v6, 0x1c00, v1
	ds_read2_b32 v[32:33], v6 offset0:68 offset1:158
	v_add_u32_e32 v6, 0x1400, v1
	ds_read2_b32 v[30:31], v6 offset0:10 offset1:100
	v_add_u32_e32 v6, 0x1e00, v1
	ds_read2_b32 v[6:7], v6 offset0:120 offset1:210
	ds_read_b32 v61, v44
	ds_read_b32 v60, v72
	;; [unrolled: 1-line block ×4, first 2 shown]
	s_and_saveexec_b64 s[2:3], vcc
	s_cbranch_execz .LBB0_29
; %bb.28:
	ds_read_b32 v50, v1 offset:5880
	ds_read_b32 v56, v51 offset:2880
	;; [unrolled: 1-line block ×3, first 2 shown]
.LBB0_29:
	s_or_b64 exec, exec, s[2:3]
	v_lshlrev_b32_e32 v64, 1, v0
	v_mov_b32_e32 v65, 0
	v_subrev_u32_e32 v58, 60, v0
	v_cmp_gt_u32_e64 s[2:3], 60, v0
	v_lshl_add_u64 v[66:67], v[64:65], 3, s[4:5]
	v_add_u32_e32 v64, 60, v64
	v_cndmask_b32_e64 v73, v58, v45, s[2:3]
	v_lshrrev_b16_e32 v58, 1, v62
	v_lshl_add_u64 v[70:71], v[64:65], 3, s[4:5]
	v_mul_u32_u24_e32 v58, 0xda75, v58
	global_load_dwordx4 v[78:81], v[70:71], off offset:1120
	v_lshrrev_b32_e32 v70, 22, v58
	v_mul_lo_u16_e32 v58, 0x96, v70
	v_sub_u16_e32 v71, v62, v58
	v_lshlrev_b32_e32 v58, 4, v71
	global_load_dwordx4 v[66:69], v[66:67], off offset:1120
	v_lshlrev_b32_e32 v64, 1, v73
	global_load_dwordx4 v[86:89], v58, s[4:5] offset:1120
	v_lshrrev_b16_e32 v58, 1, v74
	v_mul_u32_u24_e32 v58, 0xda75, v58
	v_lshrrev_b32_e32 v58, 22, v58
	v_mul_lo_u16_e32 v58, 0x96, v58
	v_sub_u16_e32 v75, v74, v58
	v_lshlrev_b32_e32 v58, 4, v75
	global_load_dwordx4 v[90:93], v58, s[4:5] offset:1120
	v_lshrrev_b16_e32 v58, 1, v106
	v_mul_u32_u24_e32 v58, 0xda75, v58
	v_lshrrev_b32_e32 v58, 22, v58
	v_mul_lo_u16_e32 v58, 0x96, v58
	v_sub_u16_e32 v76, v106, v58
	;; [unrolled: 7-line block ×3, first 2 shown]
	v_lshlrev_b32_e32 v58, 4, v111
	global_load_dwordx4 v[98:101], v58, s[4:5] offset:1120
	v_lshrrev_b16_e32 v58, 1, v104
	v_mul_u32_u24_e32 v58, 0xda75, v58
	v_lshl_add_u64 v[64:65], v[64:65], 3, s[4:5]
	v_lshrrev_b32_e32 v58, 22, v58
	global_load_dwordx4 v[82:85], v[64:65], off offset:1120
	v_mul_lo_u16_e32 v58, 0x96, v58
	v_sub_u16_e32 v112, v104, v58
	v_lshlrev_b32_e32 v58, 4, v112
	global_load_dwordx4 v[102:105], v58, s[4:5] offset:1120
	v_lshrrev_b16_e32 v58, 1, v48
	v_mul_u32_u24_e32 v58, 0xda75, v58
	v_lshrrev_b32_e32 v58, 22, v58
	v_mul_lo_u16_e32 v58, 0x96, v58
	v_sub_u16_e32 v113, v48, v58
	v_lshlrev_b32_e32 v48, 4, v113
	global_load_dwordx4 v[106:109], v48, s[4:5] offset:1120
	s_waitcnt lgkmcnt(0)
	s_barrier
	v_cmp_lt_u32_e64 s[2:3], 59, v0
	s_waitcnt vmcnt(7)
	v_mul_f32_e32 v58, v42, v67
	v_mul_f32_e32 v48, v26, v67
	;; [unrolled: 1-line block ×4, first 2 shown]
	v_fma_f32 v58, v26, v66, -v58
	v_fmac_f32_e32 v48, v42, v66
	v_mul_f32_e32 v26, v24, v79
	v_mul_f32_e32 v42, v38, v81
	v_fma_f32 v65, v28, v68, -v65
	v_fmac_f32_e32 v64, v40, v68
	v_mul_f32_e32 v40, v36, v79
	v_mul_f32_e32 v28, v22, v81
	v_fmac_f32_e32 v26, v36, v78
	v_fma_f32 v36, v22, v80, -v42
	s_waitcnt vmcnt(6)
	v_mul_f32_e32 v22, v37, v87
	v_fmac_f32_e32 v28, v38, v80
	v_fma_f32 v38, v25, v86, -v22
	s_waitcnt vmcnt(5)
	v_mul_f32_e32 v22, v34, v91
	v_fma_f32 v40, v24, v78, -v40
	v_mul_f32_e32 v24, v39, v89
	v_fma_f32 v42, v23, v88, -v24
	s_waitcnt vmcnt(2)
	v_mul_f32_e32 v67, v29, v85
	v_mul_f32_e32 v66, v27, v83
	;; [unrolled: 1-line block ×3, first 2 shown]
	v_fmac_f32_e32 v67, v41, v84
	v_mul_f32_e32 v41, v25, v87
	v_mul_f32_e32 v68, v43, v83
	v_fmac_f32_e32 v66, v43, v82
	v_mul_f32_e32 v43, v23, v89
	v_fmac_f32_e32 v41, v37, v86
	v_fma_f32 v25, v20, v90, -v22
	v_mul_f32_e32 v37, v20, v91
	v_mul_f32_e32 v20, v32, v93
	v_fmac_f32_e32 v43, v39, v88
	v_fmac_f32_e32 v37, v34, v90
	v_fma_f32 v34, v18, v92, -v20
	v_mul_f32_e32 v39, v18, v93
	v_mul_f32_e32 v18, v35, v95
	v_fma_f32 v24, v21, v94, -v18
	v_mul_f32_e32 v18, v33, v97
	v_fma_f32 v69, v29, v84, -v69
	v_fmac_f32_e32 v39, v32, v92
	v_mul_f32_e32 v29, v21, v95
	v_fma_f32 v32, v19, v96, -v18
	v_mul_f32_e32 v18, v30, v99
	v_fmac_f32_e32 v29, v35, v94
	v_mul_f32_e32 v35, v19, v97
	v_fma_f32 v18, v14, v98, -v18
	v_mul_f32_e32 v19, v14, v99
	v_mul_f32_e32 v14, v6, v101
	v_fma_f32 v68, v27, v82, -v68
	v_fma_f32 v27, v12, v100, -v14
	s_waitcnt vmcnt(1)
	v_mul_f32_e32 v14, v7, v105
	v_fmac_f32_e32 v19, v30, v98
	v_mul_f32_e32 v30, v12, v101
	v_fma_f32 v14, v13, v104, -v14
	v_mul_f32_e32 v13, v13, v105
	v_fmac_f32_e32 v30, v6, v100
	v_mul_f32_e32 v6, v31, v103
	v_fmac_f32_e32 v13, v7, v104
	s_waitcnt vmcnt(0)
	v_mul_f32_e32 v7, v50, v107
	v_fma_f32 v6, v15, v102, -v6
	v_mul_f32_e32 v12, v15, v103
	v_fma_f32 v20, v49, v106, -v7
	v_mul_f32_e32 v7, v47, v109
	v_add_f32_e32 v15, v58, v65
	v_fmac_f32_e32 v35, v33, v96
	v_fma_f32 v22, v46, v108, -v7
	v_mul_f32_e32 v23, v46, v109
	v_add_f32_e32 v7, v10, v58
	v_fma_f32 v10, -0.5, v15, v10
	v_sub_f32_e32 v15, v48, v64
	v_add_f32_e32 v33, v68, v69
	v_fmac_f32_e32 v12, v31, v102
	v_mul_f32_e32 v21, v49, v107
	v_fmac_f32_e32 v23, v47, v108
	v_fmamk_f32 v31, v15, 0x3f5db3d7, v10
	v_fmac_f32_e32 v10, 0xbf5db3d7, v15
	v_add_f32_e32 v15, v11, v68
	v_fmac_f32_e32 v11, -0.5, v33
	v_sub_f32_e32 v33, v66, v67
	v_add_f32_e32 v47, v40, v36
	v_fmac_f32_e32 v21, v50, v106
	v_fmamk_f32 v46, v33, 0x3f5db3d7, v11
	v_fmac_f32_e32 v11, 0xbf5db3d7, v33
	v_add_f32_e32 v33, v8, v40
	v_fma_f32 v8, -0.5, v47, v8
	v_sub_f32_e32 v47, v26, v28
	v_add_f32_e32 v50, v38, v42
	v_fmamk_f32 v49, v47, 0x3f5db3d7, v8
	v_fmac_f32_e32 v8, 0xbf5db3d7, v47
	v_add_f32_e32 v47, v9, v38
	v_fmac_f32_e32 v9, -0.5, v50
	v_sub_f32_e32 v50, v41, v43
	v_fmamk_f32 v78, v50, 0x3f5db3d7, v9
	v_fmac_f32_e32 v9, 0xbf5db3d7, v50
	v_add_f32_e32 v50, v53, v25
	v_add_f32_e32 v79, v50, v34
	v_add_f32_e32 v50, v25, v34
	v_fmac_f32_e32 v53, -0.5, v50
	v_sub_f32_e32 v50, v37, v39
	v_fmamk_f32 v80, v50, 0x3f5db3d7, v53
	v_fmac_f32_e32 v53, 0xbf5db3d7, v50
	v_add_f32_e32 v50, v54, v24
	v_add_f32_e32 v81, v50, v32
	;; [unrolled: 7-line block ×3, first 2 shown]
	v_add_f32_e32 v50, v18, v27
	v_fmac_f32_e32 v52, -0.5, v50
	v_sub_f32_e32 v50, v19, v30
	v_add_f32_e32 v7, v7, v65
	v_fmamk_f32 v84, v50, 0x3f5db3d7, v52
	v_fmac_f32_e32 v52, 0xbf5db3d7, v50
	v_add_f32_e32 v50, v55, v6
	v_add_f32_e32 v85, v50, v14
	;; [unrolled: 1-line block ×3, first 2 shown]
	ds_write2_b32 v1, v7, v31 offset1:150
	ds_write_b32 v1, v10 offset:1200
	v_mov_b32_e32 v7, 0x708
	v_fmac_f32_e32 v55, -0.5, v50
	v_sub_f32_e32 v50, v12, v13
	v_cndmask_b32_e64 v7, 0, v7, s[2:3]
	v_lshlrev_b32_e32 v10, 2, v73
	v_add_f32_e32 v15, v15, v69
	v_add_f32_e32 v33, v33, v36
	v_fmamk_f32 v86, v50, 0x3f5db3d7, v55
	v_fmac_f32_e32 v55, 0xbf5db3d7, v50
	v_add3_u32 v31, 0, v7, v10
	v_add_u32_e32 v50, 0x600, v51
	ds_write2_b32 v31, v15, v46 offset1:150
	ds_write_b32 v31, v11 offset:1200
	ds_write2_b32 v50, v33, v49 offset0:96 offset1:246
	ds_write_b32 v51, v8 offset:3120
	v_mul_u32_u24_e32 v7, 0x708, v70
	v_lshlrev_b32_e32 v8, 2, v71
	v_lshl_add_u32 v71, v75, 2, 0
	v_add_f32_e32 v47, v47, v42
	v_add3_u32 v70, 0, v7, v8
	v_add_u32_e32 v73, 0xe00, v71
	ds_write2_b32 v70, v47, v78 offset1:150
	ds_write_b32 v70, v9 offset:1200
	ds_write2_b32 v73, v79, v80 offset0:4 offset1:154
	ds_write_b32 v71, v53 offset:4800
	v_lshl_add_u32 v53, v76, 2, 0
	v_add_u32_e32 v7, 0x1400, v53
	ds_write2_b32 v7, v81, v82 offset0:70 offset1:220
	ds_write_b32 v53, v54 offset:6600
	v_mul_u32_u24_e32 v7, 0x708, v110
	v_lshlrev_b32_e32 v8, 2, v111
	v_add3_u32 v54, 0, v7, v8
	ds_write2_b32 v54, v83, v84 offset1:150
	ds_write_b32 v54, v52 offset:1200
	v_lshl_add_u32 v52, v112, 2, 0
	v_add_u32_e32 v7, 0x1c00, v52
	v_lshl_add_u32 v11, v113, 2, 0
	ds_write2_b32 v7, v85, v86 offset0:8 offset1:158
	ds_write_b32 v52, v55 offset:8400
	s_and_saveexec_b64 s[2:3], vcc
	s_cbranch_execz .LBB0_31
; %bb.30:
	v_add_f32_e32 v7, v20, v22
	v_fma_f32 v7, -0.5, v7, v77
	v_sub_f32_e32 v8, v21, v23
	v_fmamk_f32 v9, v8, 0xbf5db3d7, v7
	v_fmac_f32_e32 v7, 0x3f5db3d7, v8
	v_add_f32_e32 v8, v77, v20
	v_add_f32_e32 v8, v8, v22
	v_add_u32_e32 v10, 0x1c00, v11
	ds_write2_b32 v10, v8, v7 offset0:8 offset1:158
	ds_write_b32 v11, v9 offset:8400
.LBB0_31:
	s_or_b64 exec, exec, s[2:3]
	v_add_f32_e32 v7, v4, v48
	v_add_f32_e32 v55, v7, v64
	;; [unrolled: 1-line block ×3, first 2 shown]
	v_fma_f32 v64, -0.5, v7, v4
	v_sub_f32_e32 v4, v58, v65
	v_fmamk_f32 v65, v4, 0xbf5db3d7, v64
	v_fmac_f32_e32 v64, 0x3f5db3d7, v4
	v_add_f32_e32 v4, v5, v66
	v_add_f32_e32 v75, v4, v67
	;; [unrolled: 1-line block ×3, first 2 shown]
	v_fmac_f32_e32 v5, -0.5, v4
	v_sub_f32_e32 v4, v68, v69
	v_fmamk_f32 v66, v4, 0xbf5db3d7, v5
	v_fmac_f32_e32 v5, 0x3f5db3d7, v4
	v_add_f32_e32 v4, v16, v26
	v_add_f32_e32 v67, v4, v28
	v_add_f32_e32 v4, v26, v28
	v_fma_f32 v16, -0.5, v4, v16
	v_sub_f32_e32 v4, v40, v36
	v_fmamk_f32 v26, v4, 0xbf5db3d7, v16
	v_fmac_f32_e32 v16, 0x3f5db3d7, v4
	v_add_f32_e32 v4, v17, v41
	v_add_f32_e32 v28, v4, v43
	v_add_f32_e32 v4, v41, v43
	v_fmac_f32_e32 v17, -0.5, v4
	v_sub_f32_e32 v4, v38, v42
	v_fmamk_f32 v36, v4, 0xbf5db3d7, v17
	v_fmac_f32_e32 v17, 0x3f5db3d7, v4
	v_add_f32_e32 v4, v61, v37
	v_add_f32_e32 v40, v4, v39
	v_add_f32_e32 v4, v37, v39
	v_fmac_f32_e32 v61, -0.5, v4
	;; [unrolled: 7-line block ×5, first 2 shown]
	v_sub_f32_e32 v4, v6, v14
	v_fmamk_f32 v41, v4, 0xbf5db3d7, v57
	v_fmac_f32_e32 v57, 0x3f5db3d7, v4
	v_add_u32_e32 v4, 0xc00, v1
	s_waitcnt lgkmcnt(0)
	s_barrier
	ds_read2_b32 v[46:47], v4 offset0:132 offset1:222
	v_add_u32_e32 v4, 0x1200, v1
	ds_read2_b32 v[6:7], v4 offset0:108 offset1:198
	v_add_u32_e32 v4, 0x1c00, v1
	;; [unrolled: 2-line block ×9, first 2 shown]
	ds_read2_b32 v[42:43], v1 offset1:90
	ds_read2_b32 v[8:9], v4 offset0:84 offset1:174
	ds_read_b32 v58, v72
	ds_read_b32 v4, v44
	ds_read_b32 v10, v1 offset:8640
	s_waitcnt lgkmcnt(0)
	s_barrier
	ds_write2_b32 v1, v55, v65 offset1:150
	ds_write_b32 v1, v64 offset:1200
	ds_write2_b32 v31, v75, v66 offset1:150
	ds_write_b32 v31, v5 offset:1200
	ds_write2_b32 v50, v67, v26 offset0:96 offset1:246
	ds_write_b32 v51, v16 offset:3120
	ds_write2_b32 v70, v28, v36 offset1:150
	ds_write_b32 v70, v17 offset:1200
	ds_write2_b32 v73, v40, v34 offset0:4 offset1:154
	ds_write_b32 v71, v61 offset:4800
	v_add_u32_e32 v5, 0x1400, v53
	ds_write2_b32 v5, v37, v29 offset0:70 offset1:220
	ds_write_b32 v53, v60 offset:6600
	ds_write2_b32 v54, v35, v27 offset1:150
	ds_write_b32 v54, v59 offset:1200
	v_add_u32_e32 v5, 0x1c00, v52
	ds_write2_b32 v5, v30, v41 offset0:8 offset1:158
	ds_write_b32 v52, v57 offset:8400
	s_and_saveexec_b64 s[2:3], vcc
	s_cbranch_execz .LBB0_33
; %bb.32:
	v_add_f32_e32 v16, v21, v23
	v_add_f32_e32 v5, v56, v21
	v_fmac_f32_e32 v56, -0.5, v16
	v_sub_f32_e32 v16, v20, v22
	v_add_f32_e32 v5, v5, v23
	v_fmamk_f32 v17, v16, 0xbf5db3d7, v56
	v_add_u32_e32 v20, 0x1c00, v11
	v_fmamk_f32 v16, v16, 0x3f5db3d7, v56
	ds_write2_b32 v20, v5, v17 offset0:8 offset1:158
	ds_write_b32 v11, v16 offset:8400
.LBB0_33:
	s_or_b64 exec, exec, s[2:3]
	s_waitcnt lgkmcnt(0)
	s_barrier
	s_and_saveexec_b64 s[2:3], s[0:1]
	s_cbranch_execz .LBB0_35
; %bb.34:
	v_lshlrev_b32_e32 v16, 2, v74
	v_mov_b32_e32 v17, 0
	v_lshl_add_u64 v[22:23], v[16:17], 3, s[4:5]
	v_lshlrev_b32_e32 v16, 2, v62
	v_lshl_add_u64 v[40:41], v[16:17], 3, s[4:5]
	v_lshlrev_b32_e32 v16, 2, v63
	;; [unrolled: 2-line block ×4, first 2 shown]
	v_lshl_add_u64 v[20:21], v[16:17], 3, s[4:5]
	global_load_dwordx4 v[64:67], v[20:21], off offset:3520
	global_load_dwordx4 v[68:71], v[20:21], off offset:3536
	v_add_u32_e32 v11, 0x1200, v1
	v_add_u32_e32 v26, 0x1800, v1
	;; [unrolled: 1-line block ×10, first 2 shown]
	ds_read2_b32 v[52:53], v1 offset1:90
	ds_read_b32 v20, v1 offset:8640
	ds_read_b32 v5, v44
	ds_read_b32 v16, v72
	ds_read2_b32 v[28:29], v11 offset0:108 offset1:198
	ds_read2_b32 v[30:31], v21 offset0:80 offset1:170
	;; [unrolled: 1-line block ×10, first 2 shown]
	global_load_dwordx4 v[72:75], v[60:61], off offset:3536
	global_load_dwordx4 v[76:79], v[60:61], off offset:3520
	v_mov_b32_e32 v84, v42
	s_waitcnt lgkmcnt(9)
	v_mov_b32_e32 v42, v29
	v_mov_b32_e32 v80, v7
	;; [unrolled: 1-line block ×4, first 2 shown]
	s_mov_b32 s2, 0x3f737871
	s_mov_b32 s4, 0x3f167918
	v_mov_b32_e32 v1, v17
	v_lshl_add_u64 v[2:3], v[0:1], 3, v[2:3]
	s_movk_i32 s1, 0x1000
	s_mov_b32 s0, 0x3e9e377a
	v_mov_b32_e32 v52, v43
	s_mov_b64 s[6:7], 0x5a0
	v_add_u32_e32 v0, 0x168, v0
	s_waitcnt vmcnt(3)
	v_pk_mul_f32 v[60:61], v[64:65], v[16:17] op_sel_hi:[1,0]
	s_waitcnt lgkmcnt(1)
	v_pk_mul_f32 v[90:91], v[66:67], v[86:87] op_sel_hi:[1,0]
	s_waitcnt vmcnt(2) lgkmcnt(0)
	v_pk_mul_f32 v[92:93], v[70:71], v[88:89] op_sel_hi:[1,0]
	v_pk_mul_f32 v[94:95], v[68:69], v[42:43] op_sel_hi:[1,0]
	v_pk_fma_f32 v[96:97], v[58:59], v[64:65], v[60:61] op_sel:[0,0,1] op_sel_hi:[1,1,0] neg_lo:[0,0,1] neg_hi:[0,0,1]
	v_pk_fma_f32 v[58:59], v[58:59], v[64:65], v[60:61] op_sel:[0,0,1] op_sel_hi:[0,1,0]
	v_pk_fma_f32 v[60:61], v[46:47], v[66:67], v[90:91] op_sel:[0,0,1] op_sel_hi:[1,1,0] neg_lo:[0,0,1] neg_hi:[0,0,1]
	v_pk_fma_f32 v[64:65], v[46:47], v[66:67], v[90:91] op_sel:[0,0,1] op_sel_hi:[0,1,0]
	;; [unrolled: 2-line block ×4, first 2 shown]
	v_mov_b32_e32 v97, v59
	v_mov_b32_e32 v61, v65
	;; [unrolled: 1-line block ×4, first 2 shown]
	v_pk_add_f32 v[58:59], v[84:85], v[96:97]
	v_pk_add_f32 v[64:65], v[96:97], v[66:67] neg_lo:[0,1] neg_hi:[0,1]
	v_pk_add_f32 v[70:71], v[60:61], v[80:81]
	v_pk_add_f32 v[68:69], v[60:61], v[80:81] neg_lo:[0,1] neg_hi:[0,1]
	v_pk_add_f32 v[82:83], v[96:97], v[60:61] neg_lo:[0,1] neg_hi:[0,1]
	;; [unrolled: 1-line block ×3, first 2 shown]
	v_pk_add_f32 v[58:59], v[60:61], v[58:59]
	v_pk_fma_f32 v[60:61], v[70:71], 0.5, v[84:85] op_sel_hi:[1,0,1] neg_lo:[1,0,0] neg_hi:[1,0,0]
	v_pk_mul_f32 v[70:71], v[64:65], s[2:3] op_sel_hi:[1,0]
	v_pk_add_f32 v[90:91], v[66:67], v[80:81] neg_lo:[0,1] neg_hi:[0,1]
	v_pk_add_f32 v[94:95], v[80:81], v[66:67] neg_lo:[0,1] neg_hi:[0,1]
	v_pk_mul_f32 v[98:99], v[68:69], s[4:5] op_sel_hi:[1,0]
	v_pk_add_f32 v[58:59], v[58:59], v[80:81]
	v_pk_add_f32 v[80:81], v[60:61], v[70:71] op_sel:[0,1] op_sel_hi:[1,0]
	v_pk_add_f32 v[60:61], v[60:61], v[70:71] op_sel:[0,1] op_sel_hi:[1,0] neg_lo:[0,1] neg_hi:[0,1]
	v_pk_add_f32 v[96:97], v[96:97], v[66:67]
	v_pk_add_f32 v[58:59], v[58:59], v[66:67]
	v_pk_add_f32 v[60:61], v[60:61], v[98:99] op_sel:[0,1] op_sel_hi:[1,0] neg_lo:[0,1] neg_hi:[0,1]
	v_pk_add_f32 v[66:67], v[80:81], v[98:99] op_sel:[0,1] op_sel_hi:[1,0]
	v_pk_add_f32 v[82:83], v[82:83], v[90:91]
	global_store_dwordx2 v[2:3], v[58:59], off
	v_mov_b32_e32 v58, v66
	v_mov_b32_e32 v59, v61
	v_pk_fma_f32 v[84:85], v[96:97], 0.5, v[84:85] op_sel_hi:[1,0,1] neg_lo:[1,0,0] neg_hi:[1,0,0]
	v_pk_mul_f32 v[68:69], v[68:69], s[2:3] op_sel_hi:[1,0]
	v_pk_fma_f32 v[58:59], v[82:83], s[0:1], v[58:59] op_sel_hi:[1,0,1]
	v_pk_mul_f32 v[64:65], v[64:65], s[4:5] op_sel_hi:[1,0]
	v_pk_add_f32 v[70:71], v[84:85], v[68:69] op_sel:[0,1] op_sel_hi:[1,0] neg_lo:[0,1] neg_hi:[0,1]
	global_store_dwordx2 v[2:3], v[58:59], off offset:3600
	v_pk_add_f32 v[58:59], v[84:85], v[68:69] op_sel:[0,1] op_sel_hi:[1,0]
	v_pk_add_f32 v[90:91], v[92:93], v[94:95]
	v_pk_add_f32 v[58:59], v[58:59], v[64:65] op_sel:[0,1] op_sel_hi:[1,0] neg_lo:[0,1] neg_hi:[0,1]
	v_pk_add_f32 v[64:65], v[70:71], v[64:65] op_sel:[0,1] op_sel_hi:[1,0]
	v_mov_b32_e32 v69, v59
	v_mov_b32_e32 v68, v64
	v_add_co_u32_e32 v70, vcc, s1, v2
	v_mov_b32_e32 v59, v65
	v_pk_fma_f32 v[68:69], v[90:91], s[0:1], v[68:69] op_sel_hi:[1,0,1]
	v_addc_co_u32_e32 v71, vcc, 0, v3, vcc
	v_pk_fma_f32 v[58:59], v[90:91], s[0:1], v[58:59] op_sel_hi:[1,0,1]
	s_movk_i32 s1, 0x2000
	global_store_dwordx2 v[70:71], v[68:69], off offset:3104
	v_add_co_u32_e32 v68, vcc, s1, v2
	s_movk_i32 s3, 0x3000
	s_nop 0
	v_addc_co_u32_e32 v69, vcc, 0, v3, vcc
	v_mov_b32_e32 v61, v67
	v_add_co_u32_e32 v80, vcc, s3, v2
	global_store_dwordx2 v[68:69], v[58:59], off offset:2608
	v_pk_fma_f32 v[58:59], v[82:83], s[0:1], v[60:61] op_sel_hi:[1,0,1]
	v_addc_co_u32_e32 v81, vcc, 0, v3, vcc
	global_store_dwordx2 v[80:81], v[58:59], off offset:2112
	global_load_dwordx4 v[58:61], v[54:55], off offset:3536
	s_nop 0
	global_load_dwordx4 v[64:67], v[54:55], off offset:3520
	s_waitcnt vmcnt(7)
	v_pk_mul_f32 v[54:55], v[76:77], v[56:57] op_sel_hi:[1,0]
	v_mov_b32_e32 v42, v87
	v_pk_fma_f32 v[82:83], v[38:39], v[76:77], v[54:55] op_sel:[0,0,1] op_sel_hi:[1,1,0] neg_lo:[0,0,1] neg_hi:[0,0,1]
	v_pk_fma_f32 v[54:55], v[38:39], v[76:77], v[54:55] op_sel:[0,0,1] op_sel_hi:[0,1,0]
	v_mov_b32_e32 v16, v47
	v_mov_b32_e32 v38, v47
	v_pk_mul_f32 v[46:47], v[78:79], v[42:43] op_sel_hi:[1,0]
	v_mov_b32_e32 v83, v55
	v_pk_fma_f32 v[54:55], v[16:17], v[78:79], v[46:47] op_sel:[0,0,1] op_sel_hi:[1,1,0] neg_lo:[0,0,1] neg_hi:[0,0,1]
	v_pk_fma_f32 v[46:47], v[38:39], v[78:79], v[46:47] op_sel:[0,0,1] op_sel_hi:[0,1,0]
	v_mov_b32_e32 v42, v89
	v_mov_b32_e32 v55, v47
	;; [unrolled: 1-line block ×4, first 2 shown]
	v_pk_mul_f32 v[46:47], v[74:75], v[42:43] op_sel_hi:[1,0]
	v_pk_add_f32 v[42:43], v[52:53], v[82:83]
	v_pk_fma_f32 v[48:49], v[16:17], v[74:75], v[46:47] op_sel:[0,0,1] op_sel_hi:[1,1,0] neg_lo:[0,0,1] neg_hi:[0,0,1]
	v_pk_fma_f32 v[46:47], v[38:39], v[74:75], v[46:47] op_sel:[0,0,1] op_sel_hi:[0,1,0]
	v_mov_b32_e32 v49, v47
	v_pk_mul_f32 v[46:47], v[72:73], v[50:51] op_sel_hi:[1,0]
	v_pk_add_f32 v[42:43], v[54:55], v[42:43]
	v_pk_fma_f32 v[74:75], v[32:33], v[72:73], v[46:47] op_sel:[0,0,1] op_sel_hi:[1,1,0] neg_lo:[0,0,1] neg_hi:[0,0,1]
	v_pk_fma_f32 v[46:47], v[32:33], v[72:73], v[46:47] op_sel:[0,0,1] op_sel_hi:[0,1,0]
	v_mov_b32_e32 v75, v47
	v_pk_add_f32 v[42:43], v[42:43], v[74:75]
	v_pk_add_f32 v[46:47], v[54:55], v[74:75] neg_lo:[0,1] neg_hi:[0,1]
	v_pk_add_f32 v[42:43], v[42:43], v[48:49]
	global_store_dwordx2 v[2:3], v[42:43], off offset:720
	v_pk_add_f32 v[42:43], v[82:83], v[48:49] neg_lo:[0,1] neg_hi:[0,1]
	v_pk_add_f32 v[72:73], v[54:55], v[74:75]
	v_pk_add_f32 v[86:87], v[48:49], v[74:75] neg_lo:[0,1] neg_hi:[0,1]
	v_pk_add_f32 v[74:75], v[74:75], v[48:49] neg_lo:[0,1] neg_hi:[0,1]
	v_pk_add_f32 v[48:49], v[82:83], v[48:49]
	v_pk_mul_f32 v[78:79], v[46:47], s[4:5] op_sel_hi:[1,0]
	v_pk_fma_f32 v[48:49], v[48:49], 0.5, v[52:53] op_sel_hi:[1,0,1] neg_lo:[1,0,0] neg_hi:[1,0,0]
	v_pk_mul_f32 v[46:47], v[46:47], s[2:3] op_sel_hi:[1,0]
	v_pk_fma_f32 v[72:73], v[72:73], 0.5, v[52:53] op_sel_hi:[1,0,1] neg_lo:[1,0,0] neg_hi:[1,0,0]
	v_pk_mul_f32 v[76:77], v[42:43], s[2:3] op_sel_hi:[1,0]
	v_pk_add_f32 v[84:85], v[82:83], v[54:55] neg_lo:[0,1] neg_hi:[0,1]
	v_pk_mul_f32 v[42:43], v[42:43], s[4:5] op_sel_hi:[1,0]
	v_pk_add_f32 v[52:53], v[48:49], v[46:47] op_sel:[0,1] op_sel_hi:[1,0] neg_lo:[0,1] neg_hi:[0,1]
	v_pk_add_f32 v[46:47], v[48:49], v[46:47] op_sel:[0,1] op_sel_hi:[1,0]
	v_pk_add_f32 v[84:85], v[84:85], v[86:87]
	v_pk_add_f32 v[86:87], v[72:73], v[76:77] op_sel:[0,1] op_sel_hi:[1,0]
	v_pk_add_f32 v[72:73], v[72:73], v[76:77] op_sel:[0,1] op_sel_hi:[1,0] neg_lo:[0,1] neg_hi:[0,1]
	v_pk_add_f32 v[54:55], v[54:55], v[82:83] neg_lo:[0,1] neg_hi:[0,1]
	v_pk_add_f32 v[46:47], v[46:47], v[42:43] op_sel:[0,1] op_sel_hi:[1,0] neg_lo:[0,1] neg_hi:[0,1]
	v_pk_add_f32 v[42:43], v[52:53], v[42:43] op_sel:[0,1] op_sel_hi:[1,0]
	v_pk_add_f32 v[72:73], v[72:73], v[78:79] op_sel:[0,1] op_sel_hi:[1,0] neg_lo:[0,1] neg_hi:[0,1]
	v_pk_add_f32 v[76:77], v[86:87], v[78:79] op_sel:[0,1] op_sel_hi:[1,0]
	v_pk_add_f32 v[54:55], v[54:55], v[74:75]
	v_mov_b32_e32 v49, v47
	v_mov_b32_e32 v47, v43
	;; [unrolled: 1-line block ×5, first 2 shown]
	v_pk_fma_f32 v[42:43], v[54:55], s[0:1], v[46:47] op_sel_hi:[1,0,1]
	v_mov_b32_e32 v73, v77
	v_pk_fma_f32 v[78:79], v[84:85], s[0:1], v[78:79] op_sel_hi:[1,0,1]
	v_pk_fma_f32 v[48:49], v[54:55], s[0:1], v[48:49] op_sel_hi:[1,0,1]
	global_store_dwordx2 v[68:69], v[42:43], off offset:3328
	v_pk_fma_f32 v[42:43], v[84:85], s[0:1], v[72:73] op_sel_hi:[1,0,1]
	global_store_dwordx2 v[70:71], v[78:79], off offset:224
	global_store_dwordx2 v[70:71], v[48:49], off offset:3824
	;; [unrolled: 1-line block ×3, first 2 shown]
	global_load_dwordx4 v[46:49], v[40:41], off offset:3536
	s_nop 0
	global_load_dwordx4 v[52:55], v[40:41], off offset:3520
	s_mov_b32 s5, 0x91a2b3c5
	v_mul_hi_u32 v1, v63, s5
	v_lshrrev_b32_e32 v1, 8, v1
	v_mul_u32_u24_e32 v16, 0x708, v1
	v_mov_b32_e32 v38, v57
	v_lshl_add_u64 v[42:43], v[16:17], 3, v[2:3]
	v_mov_b32_e32 v16, v39
	v_mov_b32_e32 v32, v39
	v_mul_hi_u32 v1, v62, s5
	v_lshl_add_u64 v[68:69], v[42:43], 0, s[6:7]
	v_lshrrev_b32_e32 v1, 8, v1
	s_mov_b64 s[6:7], 0x870
	v_mul_hi_u32 v0, v0, s5
	s_waitcnt vmcnt(7)
	v_pk_mul_f32 v[38:39], v[64:65], v[38:39] op_sel_hi:[1,0]
	v_lshrrev_b32_e32 v0, 8, v0
	v_pk_fma_f32 v[40:41], v[16:17], v[64:65], v[38:39] op_sel:[0,0,1] op_sel_hi:[1,1,0] neg_lo:[0,0,1] neg_hi:[0,0,1]
	v_pk_fma_f32 v[38:39], v[32:33], v[64:65], v[38:39] op_sel:[0,0,1] op_sel_hi:[0,1,0]
	v_mov_b32_e32 v41, v39
	v_pk_mul_f32 v[38:39], v[66:67], v[44:45] op_sel_hi:[1,0]
	v_mov_b32_e32 v16, v33
	v_pk_fma_f32 v[56:57], v[24:25], v[66:67], v[38:39] op_sel:[0,0,1] op_sel_hi:[1,1,0] neg_lo:[0,0,1] neg_hi:[0,0,1]
	v_pk_fma_f32 v[38:39], v[24:25], v[66:67], v[38:39] op_sel:[0,0,1] op_sel_hi:[0,1,0]
	v_mov_b32_e32 v57, v39
	v_pk_mul_f32 v[38:39], v[60:61], v[36:37] op_sel_hi:[1,0]
	v_mov_b32_e32 v24, v51
	;; [unrolled: 5-line block ×3, first 2 shown]
	v_pk_fma_f32 v[38:39], v[16:17], v[58:59], v[32:33] op_sel:[0,0,1] op_sel_hi:[1,1,0] neg_lo:[0,0,1] neg_hi:[0,0,1]
	v_pk_fma_f32 v[32:33], v[18:19], v[58:59], v[32:33] op_sel:[0,0,1] op_sel_hi:[0,1,0]
	v_mov_b32_e32 v39, v33
	v_mov_b32_e32 v32, v14
	;; [unrolled: 1-line block ×3, first 2 shown]
	v_pk_add_f32 v[50:51], v[32:33], v[40:41]
	v_pk_add_f32 v[58:59], v[56:57], v[38:39] neg_lo:[0,1] neg_hi:[0,1]
	v_pk_add_f32 v[50:51], v[56:57], v[50:51]
	v_pk_add_f32 v[60:61], v[56:57], v[38:39]
	;; [unrolled: 1-line block ×3, first 2 shown]
	v_pk_add_f32 v[72:73], v[40:41], v[56:57] neg_lo:[0,1] neg_hi:[0,1]
	v_pk_add_f32 v[50:51], v[50:51], v[64:65]
	global_store_dwordx2 v[42:43], v[50:51], off offset:1440
	v_pk_add_f32 v[50:51], v[40:41], v[64:65] neg_lo:[0,1] neg_hi:[0,1]
	v_pk_add_f32 v[56:57], v[56:57], v[40:41] neg_lo:[0,1] neg_hi:[0,1]
	v_pk_add_f32 v[40:41], v[40:41], v[64:65]
	v_pk_fma_f32 v[60:61], v[60:61], 0.5, v[32:33] op_sel_hi:[1,0,1] neg_lo:[1,0,0] neg_hi:[1,0,0]
	v_pk_add_f32 v[74:75], v[64:65], v[38:39] neg_lo:[0,1] neg_hi:[0,1]
	v_pk_add_f32 v[38:39], v[38:39], v[64:65] neg_lo:[0,1] neg_hi:[0,1]
	v_pk_fma_f32 v[32:33], v[40:41], 0.5, v[32:33] op_sel_hi:[1,0,1] neg_lo:[1,0,0] neg_hi:[1,0,0]
	v_pk_mul_f32 v[40:41], v[58:59], s[2:3] op_sel_hi:[1,0]
	v_pk_mul_f32 v[66:67], v[50:51], s[2:3] op_sel_hi:[1,0]
	v_pk_add_f32 v[38:39], v[56:57], v[38:39]
	v_pk_mul_f32 v[50:51], v[50:51], s[4:5] op_sel_hi:[1,0]
	v_pk_add_f32 v[56:57], v[32:33], v[40:41] op_sel:[0,1] op_sel_hi:[1,0] neg_lo:[0,1] neg_hi:[0,1]
	v_pk_add_f32 v[32:33], v[32:33], v[40:41] op_sel:[0,1] op_sel_hi:[1,0]
	v_pk_mul_f32 v[70:71], v[58:59], s[4:5] op_sel_hi:[1,0]
	v_pk_add_f32 v[72:73], v[72:73], v[74:75]
	v_pk_add_f32 v[74:75], v[60:61], v[66:67] op_sel:[0,1] op_sel_hi:[1,0]
	v_pk_add_f32 v[60:61], v[60:61], v[66:67] op_sel:[0,1] op_sel_hi:[1,0] neg_lo:[0,1] neg_hi:[0,1]
	v_pk_add_f32 v[32:33], v[32:33], v[50:51] op_sel:[0,1] op_sel_hi:[1,0] neg_lo:[0,1] neg_hi:[0,1]
	v_pk_add_f32 v[40:41], v[56:57], v[50:51] op_sel:[0,1] op_sel_hi:[1,0]
	v_add_co_u32_e32 v56, vcc, s1, v42
	v_pk_add_f32 v[60:61], v[60:61], v[70:71] op_sel:[0,1] op_sel_hi:[1,0] neg_lo:[0,1] neg_hi:[0,1]
	v_pk_add_f32 v[66:67], v[74:75], v[70:71] op_sel:[0,1] op_sel_hi:[1,0]
	v_mov_b32_e32 v50, v40
	v_mov_b32_e32 v51, v33
	v_addc_co_u32_e32 v57, vcc, 0, v43, vcc
	v_mov_b32_e32 v33, v41
	v_mov_b32_e32 v71, v61
	v_pk_fma_f32 v[50:51], v[38:39], s[0:1], v[50:51] op_sel_hi:[1,0,1]
	v_pk_fma_f32 v[32:33], v[38:39], s[0:1], v[32:33] op_sel_hi:[1,0,1]
	v_mov_b32_e32 v61, v67
	v_add_co_u32_e32 v38, vcc, s3, v42
	v_mov_b32_e32 v70, v66
	global_store_dwordx2 v[56:57], v[32:33], off offset:4048
	v_pk_fma_f32 v[32:33], v[72:73], s[0:1], v[60:61] op_sel_hi:[1,0,1]
	v_addc_co_u32_e32 v39, vcc, 0, v43, vcc
	v_pk_fma_f32 v[70:71], v[72:73], s[0:1], v[70:71] op_sel_hi:[1,0,1]
	global_store_dwordx2 v[38:39], v[32:33], off offset:3552
	s_waitcnt vmcnt(3)
	v_pk_mul_f32 v[38:39], v[52:53], v[30:31] op_sel_hi:[1,0]
	global_store_dwordx2 v[68:69], v[70:71], off offset:3600
	global_store_dwordx2 v[56:57], v[50:51], off offset:448
	v_mul_u32_u24_e32 v16, 0x708, v1
	v_pk_fma_f32 v[56:57], v[12:13], v[52:53], v[38:39] op_sel:[0,0,1] op_sel_hi:[1,1,0] neg_lo:[0,0,1] neg_hi:[0,0,1]
	v_pk_fma_f32 v[38:39], v[12:13], v[52:53], v[38:39] op_sel:[0,0,1] op_sel_hi:[0,1,0]
	v_lshl_add_u64 v[32:33], v[16:17], 3, v[2:3]
	v_mov_b32_e32 v57, v39
	v_mov_b32_e32 v16, v45
	global_load_dwordx4 v[38:41], v[22:23], off offset:3536
	global_load_dwordx4 v[42:45], v[22:23], off offset:3520
	v_mov_b32_e32 v12, v25
	v_mov_b32_e32 v14, v25
	v_pk_mul_f32 v[24:25], v[54:55], v[16:17] op_sel_hi:[1,0]
	v_mov_b32_e32 v16, v37
	v_pk_fma_f32 v[52:53], v[12:13], v[54:55], v[24:25] op_sel:[0,0,1] op_sel_hi:[1,1,0] neg_lo:[0,0,1] neg_hi:[0,0,1]
	v_pk_fma_f32 v[24:25], v[14:15], v[54:55], v[24:25] op_sel:[0,0,1] op_sel_hi:[0,1,0]
	v_mov_b32_e32 v12, v19
	v_mov_b32_e32 v14, v19
	v_pk_mul_f32 v[18:19], v[48:49], v[16:17] op_sel_hi:[1,0]
	v_mov_b32_e32 v34, v15
	v_pk_fma_f32 v[22:23], v[12:13], v[48:49], v[18:19] op_sel:[0,0,1] op_sel_hi:[1,1,0] neg_lo:[0,0,1] neg_hi:[0,0,1]
	v_pk_fma_f32 v[18:19], v[14:15], v[48:49], v[18:19] op_sel:[0,0,1] op_sel_hi:[0,1,0]
	v_mov_b32_e32 v23, v19
	v_pk_mul_f32 v[18:19], v[46:47], v[26:27] op_sel_hi:[1,0]
	v_mov_b32_e32 v53, v25
	v_pk_fma_f32 v[24:25], v[8:9], v[46:47], v[18:19] op_sel:[0,0,1] op_sel_hi:[1,1,0] neg_lo:[0,0,1] neg_hi:[0,0,1]
	v_pk_fma_f32 v[18:19], v[8:9], v[46:47], v[18:19] op_sel:[0,0,1] op_sel_hi:[0,1,0]
	v_pk_add_f32 v[14:15], v[34:35], v[56:57]
	v_mov_b32_e32 v25, v19
	v_pk_add_f32 v[14:15], v[52:53], v[14:15]
	v_pk_add_f32 v[36:37], v[52:53], v[24:25]
	;; [unrolled: 1-line block ×3, first 2 shown]
	v_pk_add_f32 v[18:19], v[52:53], v[24:25] neg_lo:[0,1] neg_hi:[0,1]
	v_pk_add_f32 v[14:15], v[14:15], v[22:23]
	global_store_dwordx2 v[32:33], v[14:15], off offset:2160
	v_pk_add_f32 v[14:15], v[56:57], v[22:23] neg_lo:[0,1] neg_hi:[0,1]
	v_pk_fma_f32 v[36:37], v[36:37], 0.5, v[34:35] op_sel_hi:[1,0,1] neg_lo:[1,0,0] neg_hi:[1,0,0]
	v_pk_mul_f32 v[46:47], v[14:15], s[2:3] op_sel_hi:[1,0]
	v_pk_add_f32 v[54:55], v[56:57], v[52:53] neg_lo:[0,1] neg_hi:[0,1]
	v_pk_add_f32 v[58:59], v[22:23], v[24:25] neg_lo:[0,1] neg_hi:[0,1]
	v_pk_mul_f32 v[48:49], v[18:19], s[4:5] op_sel_hi:[1,0]
	v_pk_add_f32 v[54:55], v[54:55], v[58:59]
	v_pk_add_f32 v[58:59], v[36:37], v[46:47] op_sel:[0,1] op_sel_hi:[1,0]
	v_pk_add_f32 v[36:37], v[36:37], v[46:47] op_sel:[0,1] op_sel_hi:[1,0] neg_lo:[0,1] neg_hi:[0,1]
	v_pk_add_f32 v[46:47], v[58:59], v[48:49] op_sel:[0,1] op_sel_hi:[1,0]
	v_pk_add_f32 v[36:37], v[36:37], v[48:49] op_sel:[0,1] op_sel_hi:[1,0] neg_lo:[0,1] neg_hi:[0,1]
	v_pk_add_f32 v[24:25], v[24:25], v[22:23] neg_lo:[0,1] neg_hi:[0,1]
	v_pk_add_f32 v[22:23], v[56:57], v[22:23]
	v_mov_b32_e32 v48, v46
	v_mov_b32_e32 v49, v37
	v_pk_fma_f32 v[22:23], v[22:23], 0.5, v[34:35] op_sel_hi:[1,0,1] neg_lo:[1,0,0] neg_hi:[1,0,0]
	v_pk_mul_f32 v[18:19], v[18:19], s[2:3] op_sel_hi:[1,0]
	v_lshl_add_u64 v[50:51], v[32:33], 0, s[6:7]
	v_pk_fma_f32 v[48:49], v[54:55], s[0:1], v[48:49] op_sel_hi:[1,0,1]
	v_pk_mul_f32 v[14:15], v[14:15], s[4:5] op_sel_hi:[1,0]
	v_pk_add_f32 v[34:35], v[22:23], v[18:19] op_sel:[0,1] op_sel_hi:[1,0] neg_lo:[0,1] neg_hi:[0,1]
	v_pk_add_f32 v[18:19], v[22:23], v[18:19] op_sel:[0,1] op_sel_hi:[1,0]
	global_store_dwordx2 v[50:51], v[48:49], off offset:3600
	v_pk_add_f32 v[48:49], v[52:53], v[56:57] neg_lo:[0,1] neg_hi:[0,1]
	v_pk_add_f32 v[18:19], v[18:19], v[14:15] op_sel:[0,1] op_sel_hi:[1,0] neg_lo:[0,1] neg_hi:[0,1]
	v_pk_add_f32 v[14:15], v[34:35], v[14:15] op_sel:[0,1] op_sel_hi:[1,0]
	v_add_co_u32_e32 v34, vcc, s1, v32
	v_pk_add_f32 v[24:25], v[48:49], v[24:25]
	v_mov_b32_e32 v23, v19
	v_addc_co_u32_e32 v35, vcc, 0, v33, vcc
	v_mov_b32_e32 v19, v15
	v_mov_b32_e32 v22, v14
	v_pk_fma_f32 v[14:15], v[24:25], s[0:1], v[18:19] op_sel_hi:[1,0,1]
	v_add_co_u32_e32 v18, vcc, s3, v32
	s_movk_i32 s3, 0x4000
	s_nop 0
	v_addc_co_u32_e32 v19, vcc, 0, v33, vcc
	global_store_dwordx2 v[18:19], v[14:15], off offset:672
	v_mov_b32_e32 v37, v47
	v_add_co_u32_e32 v18, vcc, s3, v32
	v_pk_fma_f32 v[14:15], v[54:55], s[0:1], v[36:37] op_sel_hi:[1,0,1]
	s_nop 0
	v_addc_co_u32_e32 v19, vcc, 0, v33, vcc
	global_store_dwordx2 v[18:19], v[14:15], off offset:176
	v_mov_b32_e32 v14, v31
	v_mul_u32_u24_e32 v16, 0x708, v0
	v_mov_b32_e32 v8, v13
	v_mov_b32_e32 v12, v13
	v_lshl_add_u64 v[0:1], v[16:17], 3, v[2:3]
	v_pk_fma_f32 v[22:23], v[24:25], s[0:1], v[22:23] op_sel_hi:[1,0,1]
	s_waitcnt vmcnt(4)
	v_pk_mul_f32 v[14:15], v[42:43], v[14:15] op_sel_hi:[1,0]
	global_store_dwordx2 v[34:35], v[22:23], off offset:1168
	v_pk_fma_f32 v[16:17], v[8:9], v[42:43], v[14:15] op_sel:[0,0,1] op_sel_hi:[1,1,0] neg_lo:[0,0,1] neg_hi:[0,0,1]
	v_pk_fma_f32 v[12:13], v[12:13], v[42:43], v[14:15] op_sel:[0,0,1] op_sel_hi:[0,1,0]
	v_mov_b32_e32 v17, v13
	v_pk_mul_f32 v[12:13], v[44:45], v[28:29] op_sel_hi:[1,0]
	v_mov_b32_e32 v8, v9
	v_pk_fma_f32 v[14:15], v[6:7], v[44:45], v[12:13] op_sel:[0,0,1] op_sel_hi:[1,1,0] neg_lo:[0,0,1] neg_hi:[0,0,1]
	v_pk_fma_f32 v[6:7], v[6:7], v[44:45], v[12:13] op_sel:[0,0,1] op_sel_hi:[0,1,0]
	v_mov_b32_e32 v15, v7
	v_pk_mul_f32 v[6:7], v[40:41], v[20:21] op_sel_hi:[1,0]
	v_pk_add_f32 v[24:25], v[16:17], v[14:15] neg_lo:[0,1] neg_hi:[0,1]
	v_pk_fma_f32 v[12:13], v[10:11], v[40:41], v[6:7] op_sel:[0,0,1] op_sel_hi:[1,1,0] neg_lo:[0,0,1] neg_hi:[0,0,1]
	v_pk_fma_f32 v[6:7], v[10:11], v[40:41], v[6:7] op_sel:[0,0,1] op_sel_hi:[0,1,0]
	v_mov_b32_e32 v10, v27
	v_mov_b32_e32 v6, v9
	v_pk_mul_f32 v[10:11], v[38:39], v[10:11] op_sel_hi:[1,0]
	v_mov_b32_e32 v13, v7
	v_pk_fma_f32 v[6:7], v[6:7], v[38:39], v[10:11] op_sel:[0,0,1] op_sel_hi:[1,1,0] neg_lo:[0,0,1] neg_hi:[0,0,1]
	v_pk_fma_f32 v[8:9], v[8:9], v[38:39], v[10:11] op_sel:[0,0,1] op_sel_hi:[0,1,0]
	v_mov_b32_e32 v7, v9
	v_pk_add_f32 v[8:9], v[4:5], v[16:17]
	v_pk_add_f32 v[18:19], v[14:15], v[6:7]
	;; [unrolled: 1-line block ×3, first 2 shown]
	v_pk_add_f32 v[10:11], v[14:15], v[6:7] neg_lo:[0,1] neg_hi:[0,1]
	v_pk_add_f32 v[8:9], v[8:9], v[6:7]
	v_pk_fma_f32 v[18:19], v[18:19], 0.5, v[4:5] op_sel_hi:[1,0,1] neg_lo:[1,0,0] neg_hi:[1,0,0]
	v_pk_add_f32 v[8:9], v[8:9], v[12:13]
	global_store_dwordx2 v[0:1], v[8:9], off offset:2880
	v_pk_add_f32 v[8:9], v[16:17], v[12:13] neg_lo:[0,1] neg_hi:[0,1]
	v_pk_add_f32 v[26:27], v[12:13], v[6:7] neg_lo:[0,1] neg_hi:[0,1]
	v_pk_mul_f32 v[20:21], v[8:9], s[2:3] op_sel_hi:[1,0]
	v_pk_mul_f32 v[22:23], v[10:11], s[4:5] op_sel_hi:[1,0]
	v_pk_add_f32 v[24:25], v[24:25], v[26:27]
	v_pk_add_f32 v[26:27], v[18:19], v[20:21] op_sel:[0,1] op_sel_hi:[1,0]
	v_pk_add_f32 v[18:19], v[18:19], v[20:21] op_sel:[0,1] op_sel_hi:[1,0] neg_lo:[0,1] neg_hi:[0,1]
	v_pk_add_f32 v[20:21], v[26:27], v[22:23] op_sel:[0,1] op_sel_hi:[1,0]
	v_pk_add_f32 v[18:19], v[18:19], v[22:23] op_sel:[0,1] op_sel_hi:[1,0] neg_lo:[0,1] neg_hi:[0,1]
	s_mov_b64 s[6:7], 0xb40
	v_mov_b32_e32 v22, v20
	v_mov_b32_e32 v23, v19
	v_lshl_add_u64 v[2:3], v[0:1], 0, s[6:7]
	v_pk_fma_f32 v[22:23], v[24:25], s[0:1], v[22:23] op_sel_hi:[1,0,1]
	global_store_dwordx2 v[2:3], v[22:23], off offset:3600
	v_pk_add_f32 v[2:3], v[14:15], v[16:17] neg_lo:[0,1] neg_hi:[0,1]
	v_pk_add_f32 v[6:7], v[6:7], v[12:13] neg_lo:[0,1] neg_hi:[0,1]
	v_pk_mul_f32 v[8:9], v[8:9], s[4:5] op_sel_hi:[1,0]
	v_pk_add_f32 v[2:3], v[2:3], v[6:7]
	v_pk_add_f32 v[6:7], v[16:17], v[12:13]
	v_mov_b32_e32 v19, v21
	v_pk_fma_f32 v[4:5], v[6:7], 0.5, v[4:5] op_sel_hi:[1,0,1] neg_lo:[1,0,0] neg_hi:[1,0,0]
	v_pk_mul_f32 v[6:7], v[10:11], s[2:3] op_sel_hi:[1,0]
	s_nop 0
	v_pk_add_f32 v[10:11], v[4:5], v[6:7] op_sel:[0,1] op_sel_hi:[1,0] neg_lo:[0,1] neg_hi:[0,1]
	v_pk_add_f32 v[4:5], v[4:5], v[6:7] op_sel:[0,1] op_sel_hi:[1,0]
	v_pk_add_f32 v[6:7], v[10:11], v[8:9] op_sel:[0,1] op_sel_hi:[1,0]
	v_pk_add_f32 v[4:5], v[4:5], v[8:9] op_sel:[0,1] op_sel_hi:[1,0] neg_lo:[0,1] neg_hi:[0,1]
	v_add_co_u32_e32 v10, vcc, s1, v0
	v_mov_b32_e32 v8, v6
	v_mov_b32_e32 v9, v5
	v_addc_co_u32_e32 v11, vcc, 0, v1, vcc
	v_mov_b32_e32 v5, v7
	v_pk_fma_f32 v[8:9], v[2:3], s[0:1], v[8:9] op_sel_hi:[1,0,1]
	v_pk_fma_f32 v[2:3], v[2:3], s[0:1], v[4:5] op_sel_hi:[1,0,1]
	v_add_co_u32_e32 v4, vcc, 0x3000, v0
	global_store_dwordx2 v[10:11], v[8:9], off offset:1888
	s_nop 0
	v_addc_co_u32_e32 v5, vcc, 0, v1, vcc
	v_add_co_u32_e32 v0, vcc, 0x4000, v0
	global_store_dwordx2 v[4:5], v[2:3], off offset:1392
	v_pk_fma_f32 v[2:3], v[24:25], s[0:1], v[18:19] op_sel_hi:[1,0,1]
	v_addc_co_u32_e32 v1, vcc, 0, v1, vcc
	global_store_dwordx2 v[0:1], v[2:3], off offset:896
.LBB0_35:
	s_endpgm
	.section	.rodata,"a",@progbits
	.p2align	6, 0x0
	.amdhsa_kernel fft_rtc_fwd_len2250_factors_10_3_5_3_5_wgs_90_tpt_90_halfLds_sp_ip_CI_unitstride_sbrr_dirReg
		.amdhsa_group_segment_fixed_size 0
		.amdhsa_private_segment_fixed_size 0
		.amdhsa_kernarg_size 88
		.amdhsa_user_sgpr_count 2
		.amdhsa_user_sgpr_dispatch_ptr 0
		.amdhsa_user_sgpr_queue_ptr 0
		.amdhsa_user_sgpr_kernarg_segment_ptr 1
		.amdhsa_user_sgpr_dispatch_id 0
		.amdhsa_user_sgpr_kernarg_preload_length 0
		.amdhsa_user_sgpr_kernarg_preload_offset 0
		.amdhsa_user_sgpr_private_segment_size 0
		.amdhsa_uses_dynamic_stack 0
		.amdhsa_enable_private_segment 0
		.amdhsa_system_sgpr_workgroup_id_x 1
		.amdhsa_system_sgpr_workgroup_id_y 0
		.amdhsa_system_sgpr_workgroup_id_z 0
		.amdhsa_system_sgpr_workgroup_info 0
		.amdhsa_system_vgpr_workitem_id 0
		.amdhsa_next_free_vgpr 136
		.amdhsa_next_free_sgpr 22
		.amdhsa_accum_offset 136
		.amdhsa_reserve_vcc 1
		.amdhsa_float_round_mode_32 0
		.amdhsa_float_round_mode_16_64 0
		.amdhsa_float_denorm_mode_32 3
		.amdhsa_float_denorm_mode_16_64 3
		.amdhsa_dx10_clamp 1
		.amdhsa_ieee_mode 1
		.amdhsa_fp16_overflow 0
		.amdhsa_tg_split 0
		.amdhsa_exception_fp_ieee_invalid_op 0
		.amdhsa_exception_fp_denorm_src 0
		.amdhsa_exception_fp_ieee_div_zero 0
		.amdhsa_exception_fp_ieee_overflow 0
		.amdhsa_exception_fp_ieee_underflow 0
		.amdhsa_exception_fp_ieee_inexact 0
		.amdhsa_exception_int_div_zero 0
	.end_amdhsa_kernel
	.text
.Lfunc_end0:
	.size	fft_rtc_fwd_len2250_factors_10_3_5_3_5_wgs_90_tpt_90_halfLds_sp_ip_CI_unitstride_sbrr_dirReg, .Lfunc_end0-fft_rtc_fwd_len2250_factors_10_3_5_3_5_wgs_90_tpt_90_halfLds_sp_ip_CI_unitstride_sbrr_dirReg
                                        ; -- End function
	.section	.AMDGPU.csdata,"",@progbits
; Kernel info:
; codeLenInByte = 16520
; NumSgprs: 28
; NumVgprs: 136
; NumAgprs: 0
; TotalNumVgprs: 136
; ScratchSize: 0
; MemoryBound: 0
; FloatMode: 240
; IeeeMode: 1
; LDSByteSize: 0 bytes/workgroup (compile time only)
; SGPRBlocks: 3
; VGPRBlocks: 16
; NumSGPRsForWavesPerEU: 28
; NumVGPRsForWavesPerEU: 136
; AccumOffset: 136
; Occupancy: 3
; WaveLimiterHint : 1
; COMPUTE_PGM_RSRC2:SCRATCH_EN: 0
; COMPUTE_PGM_RSRC2:USER_SGPR: 2
; COMPUTE_PGM_RSRC2:TRAP_HANDLER: 0
; COMPUTE_PGM_RSRC2:TGID_X_EN: 1
; COMPUTE_PGM_RSRC2:TGID_Y_EN: 0
; COMPUTE_PGM_RSRC2:TGID_Z_EN: 0
; COMPUTE_PGM_RSRC2:TIDIG_COMP_CNT: 0
; COMPUTE_PGM_RSRC3_GFX90A:ACCUM_OFFSET: 33
; COMPUTE_PGM_RSRC3_GFX90A:TG_SPLIT: 0
	.text
	.p2alignl 6, 3212836864
	.fill 256, 4, 3212836864
	.type	__hip_cuid_88592f8e8acfa672,@object ; @__hip_cuid_88592f8e8acfa672
	.section	.bss,"aw",@nobits
	.globl	__hip_cuid_88592f8e8acfa672
__hip_cuid_88592f8e8acfa672:
	.byte	0                               ; 0x0
	.size	__hip_cuid_88592f8e8acfa672, 1

	.ident	"AMD clang version 19.0.0git (https://github.com/RadeonOpenCompute/llvm-project roc-6.4.0 25133 c7fe45cf4b819c5991fe208aaa96edf142730f1d)"
	.section	".note.GNU-stack","",@progbits
	.addrsig
	.addrsig_sym __hip_cuid_88592f8e8acfa672
	.amdgpu_metadata
---
amdhsa.kernels:
  - .agpr_count:     0
    .args:
      - .actual_access:  read_only
        .address_space:  global
        .offset:         0
        .size:           8
        .value_kind:     global_buffer
      - .offset:         8
        .size:           8
        .value_kind:     by_value
      - .actual_access:  read_only
        .address_space:  global
        .offset:         16
        .size:           8
        .value_kind:     global_buffer
      - .actual_access:  read_only
        .address_space:  global
        .offset:         24
        .size:           8
        .value_kind:     global_buffer
      - .offset:         32
        .size:           8
        .value_kind:     by_value
      - .actual_access:  read_only
        .address_space:  global
        .offset:         40
        .size:           8
        .value_kind:     global_buffer
      - .actual_access:  read_only
        .address_space:  global
        .offset:         48
        .size:           8
        .value_kind:     global_buffer
      - .offset:         56
        .size:           4
        .value_kind:     by_value
      - .actual_access:  read_only
        .address_space:  global
        .offset:         64
        .size:           8
        .value_kind:     global_buffer
      - .actual_access:  read_only
        .address_space:  global
        .offset:         72
        .size:           8
        .value_kind:     global_buffer
      - .address_space:  global
        .offset:         80
        .size:           8
        .value_kind:     global_buffer
    .group_segment_fixed_size: 0
    .kernarg_segment_align: 8
    .kernarg_segment_size: 88
    .language:       OpenCL C
    .language_version:
      - 2
      - 0
    .max_flat_workgroup_size: 90
    .name:           fft_rtc_fwd_len2250_factors_10_3_5_3_5_wgs_90_tpt_90_halfLds_sp_ip_CI_unitstride_sbrr_dirReg
    .private_segment_fixed_size: 0
    .sgpr_count:     28
    .sgpr_spill_count: 0
    .symbol:         fft_rtc_fwd_len2250_factors_10_3_5_3_5_wgs_90_tpt_90_halfLds_sp_ip_CI_unitstride_sbrr_dirReg.kd
    .uniform_work_group_size: 1
    .uses_dynamic_stack: false
    .vgpr_count:     136
    .vgpr_spill_count: 0
    .wavefront_size: 64
amdhsa.target:   amdgcn-amd-amdhsa--gfx950
amdhsa.version:
  - 1
  - 2
...

	.end_amdgpu_metadata
